;; amdgpu-corpus repo=ROCm/rocFFT kind=compiled arch=gfx906 opt=O3
	.text
	.amdgcn_target "amdgcn-amd-amdhsa--gfx906"
	.amdhsa_code_object_version 6
	.protected	bluestein_single_back_len104_dim1_half_op_CI_CI ; -- Begin function bluestein_single_back_len104_dim1_half_op_CI_CI
	.globl	bluestein_single_back_len104_dim1_half_op_CI_CI
	.p2align	8
	.type	bluestein_single_back_len104_dim1_half_op_CI_CI,@function
bluestein_single_back_len104_dim1_half_op_CI_CI: ; @bluestein_single_back_len104_dim1_half_op_CI_CI
; %bb.0:
	s_load_dwordx4 s[16:19], s[4:5], 0x28
	v_lshrrev_b32_e32 v2, 3, v0
	v_mov_b32_e32 v1, 0
	v_lshl_or_b32 v14, s6, 3, v2
	v_mov_b32_e32 v15, v1
	s_waitcnt lgkmcnt(0)
	v_cmp_gt_u64_e32 vcc, s[16:17], v[14:15]
	s_and_saveexec_b64 s[0:1], vcc
	s_cbranch_execz .LBB0_10
; %bb.1:
	s_load_dwordx4 s[0:3], s[4:5], 0x18
	s_load_dwordx4 s[8:11], s[4:5], 0x0
	v_and_b32_e32 v39, 7, v0
	v_mul_u32_u24_e32 v25, 0x68, v2
	v_lshlrev_b32_e32 v24, 2, v39
	s_waitcnt lgkmcnt(0)
	s_load_dwordx4 s[12:15], s[0:1], 0x0
	global_load_dword v41, v24, s[8:9]
	v_lshl_or_b32 v31, v25, 2, v24
	s_mov_b32 s21, 0xffff
	s_mov_b32 s23, 0xbbf1
	s_waitcnt lgkmcnt(0)
	v_mad_u64_u32 v[3:4], s[0:1], s14, v14, 0
	v_mad_u64_u32 v[5:6], s[0:1], s12, v39, 0
	v_mov_b32_e32 v0, v4
	s_mov_b32 s16, 0xb9fd
	v_mov_b32_e32 v4, v6
	v_mad_u64_u32 v[6:7], s[0:1], s15, v14, v[0:1]
	v_mad_u64_u32 v[7:8], s[0:1], s13, v39, v[4:5]
	v_mov_b32_e32 v4, v6
	v_lshlrev_b64 v[3:4], 2, v[3:4]
	v_mov_b32_e32 v6, v7
	v_mov_b32_e32 v0, s19
	v_lshlrev_b64 v[5:6], 2, v[5:6]
	v_add_co_u32_e32 v3, vcc, s18, v3
	v_addc_co_u32_e32 v0, vcc, v0, v4, vcc
	v_add_co_u32_e32 v3, vcc, v3, v5
	v_addc_co_u32_e32 v4, vcc, v0, v6, vcc
	s_lshl_b64 s[0:1], s[12:13], 5
	v_mov_b32_e32 v5, s1
	v_add_co_u32_e32 v2, vcc, s0, v3
	global_load_dword v0, v[3:4], off
	v_addc_co_u32_e32 v3, vcc, v4, v5, vcc
	global_load_dword v4, v[2:3], off
	global_load_dword v40, v24, s[8:9] offset:32
	v_add_co_u32_e32 v2, vcc, s0, v2
	v_addc_co_u32_e32 v3, vcc, v3, v5, vcc
	global_load_dword v8, v[2:3], off
	global_load_dword v38, v24, s[8:9] offset:64
	v_add_co_u32_e32 v2, vcc, s0, v2
	v_addc_co_u32_e32 v3, vcc, v3, v5, vcc
	s_load_dwordx2 s[14:15], s[4:5], 0x38
	v_or_b32_e32 v7, v25, v39
	s_load_dwordx4 s[4:7], s[2:3], 0x0
	global_load_dword v9, v[2:3], off
	global_load_dword v37, v24, s[8:9] offset:96
	v_add_co_u32_e32 v2, vcc, s0, v2
	v_addc_co_u32_e32 v3, vcc, v3, v5, vcc
	global_load_dword v10, v[2:3], off
	global_load_dword v36, v24, s[8:9] offset:128
	v_add_co_u32_e32 v2, vcc, s0, v2
	v_addc_co_u32_e32 v3, vcc, v3, v5, vcc
	;; [unrolled: 4-line block ×3, first 2 shown]
	global_load_dword v12, v[2:3], off
	global_load_dword v34, v24, s[8:9] offset:192
	global_load_dword v33, v24, s[8:9] offset:224
	v_add_co_u32_e32 v2, vcc, s0, v2
	v_addc_co_u32_e32 v3, vcc, v3, v5, vcc
	global_load_dword v13, v[2:3], off
	global_load_dword v32, v24, s[8:9] offset:256
	v_add_co_u32_e32 v2, vcc, s0, v2
	v_addc_co_u32_e32 v3, vcc, v3, v5, vcc
	global_load_dword v15, v[2:3], off
	v_add_co_u32_e32 v2, vcc, s0, v2
	v_addc_co_u32_e32 v3, vcc, v3, v5, vcc
	global_load_dword v16, v[2:3], off
	global_load_dword v30, v24, s[8:9] offset:288
	global_load_dword v29, v24, s[8:9] offset:320
	;; [unrolled: 1-line block ×3, first 2 shown]
	v_add_co_u32_e32 v2, vcc, s0, v2
	v_addc_co_u32_e32 v3, vcc, v3, v5, vcc
	global_load_dword v17, v[2:3], off
	v_add_co_u32_e32 v2, vcc, s0, v2
	v_addc_co_u32_e32 v3, vcc, v3, v5, vcc
	global_load_dword v18, v[2:3], off
	;; [unrolled: 3-line block ×3, first 2 shown]
	global_load_dword v27, v24, s[8:9] offset:384
	v_lshlrev_b32_e32 v42, 2, v7
	s_mov_b32 s0, 0xb770
	s_mov_b32 s1, 0x3b15388b
	s_movk_i32 s2, 0x388b
	s_mov_b32 s3, 0xbb7b
	s_mov_b32 s12, 0xb5ac
	s_mov_b32 s13, 0xb94e
	s_mov_b32 s22, 0xba95
	s_mov_b32 s17, 0x388bb5ac
	s_mov_b32 s18, 0xbbc4
	s_movk_i32 s19, 0x394e
	s_mov_b32 s20, 0x2fb7bbc4
	s_mov_b32 s24, 0xb5acb9fd
	v_mov_b32_e32 v6, s9
	s_waitcnt vmcnt(24)
	v_lshrrev_b32_e32 v19, 16, v0
	v_mul_f16_sdwa v20, v41, v19 dst_sel:DWORD dst_unused:UNUSED_PAD src0_sel:WORD_1 src1_sel:DWORD
	s_waitcnt vmcnt(23)
	v_lshrrev_b32_e32 v2, 16, v4
	s_waitcnt vmcnt(22)
	v_mul_f16_sdwa v3, v40, v2 dst_sel:DWORD dst_unused:UNUSED_PAD src0_sel:WORD_1 src1_sel:DWORD
	v_fma_f16 v3, v40, v4, v3
	v_mul_f16_sdwa v4, v40, v4 dst_sel:DWORD dst_unused:UNUSED_PAD src0_sel:WORD_1 src1_sel:DWORD
	v_fma_f16 v2, v40, v2, -v4
	v_pack_b32_f16 v2, v3, v2
	s_waitcnt vmcnt(21)
	v_lshrrev_b32_e32 v3, 16, v8
	v_fma_f16 v20, v41, v0, v20
	v_mul_f16_sdwa v0, v41, v0 dst_sel:DWORD dst_unused:UNUSED_PAD src0_sel:WORD_1 src1_sel:DWORD
	s_waitcnt vmcnt(20)
	v_mul_f16_sdwa v4, v38, v3 dst_sel:DWORD dst_unused:UNUSED_PAD src0_sel:WORD_1 src1_sel:DWORD
	v_mul_f16_sdwa v7, v38, v8 dst_sel:DWORD dst_unused:UNUSED_PAD src0_sel:WORD_1 src1_sel:DWORD
	v_fma_f16 v0, v41, v19, -v0
	v_fma_f16 v4, v38, v8, v4
	v_fma_f16 v3, v38, v3, -v7
	v_pack_b32_f16 v0, v20, v0
	v_pack_b32_f16 v3, v4, v3
	ds_write_b32 v42, v0
	ds_write2_b32 v31, v2, v3 offset0:8 offset1:16
	s_waitcnt vmcnt(19)
	v_lshrrev_b32_e32 v2, 16, v9
	s_waitcnt vmcnt(18)
	v_mul_f16_sdwa v3, v37, v2 dst_sel:DWORD dst_unused:UNUSED_PAD src0_sel:WORD_1 src1_sel:DWORD
	v_mul_f16_sdwa v4, v37, v9 dst_sel:DWORD dst_unused:UNUSED_PAD src0_sel:WORD_1 src1_sel:DWORD
	v_fma_f16 v3, v37, v9, v3
	v_fma_f16 v2, v37, v2, -v4
	v_pack_b32_f16 v2, v3, v2
	s_waitcnt vmcnt(17)
	v_lshrrev_b32_e32 v3, 16, v10
	s_waitcnt vmcnt(16)
	v_mul_f16_sdwa v4, v36, v3 dst_sel:DWORD dst_unused:UNUSED_PAD src0_sel:WORD_1 src1_sel:DWORD
	v_mul_f16_sdwa v7, v36, v10 dst_sel:DWORD dst_unused:UNUSED_PAD src0_sel:WORD_1 src1_sel:DWORD
	v_fma_f16 v4, v36, v10, v4
	v_fma_f16 v3, v36, v3, -v7
	v_pack_b32_f16 v3, v4, v3
	ds_write2_b32 v31, v2, v3 offset0:24 offset1:32
	s_waitcnt vmcnt(15)
	v_lshrrev_b32_e32 v2, 16, v11
	s_waitcnt vmcnt(14)
	v_mul_f16_sdwa v3, v35, v2 dst_sel:DWORD dst_unused:UNUSED_PAD src0_sel:WORD_1 src1_sel:DWORD
	v_mul_f16_sdwa v4, v35, v11 dst_sel:DWORD dst_unused:UNUSED_PAD src0_sel:WORD_1 src1_sel:DWORD
	v_fma_f16 v3, v35, v11, v3
	v_fma_f16 v2, v35, v2, -v4
	v_pack_b32_f16 v2, v3, v2
	s_waitcnt vmcnt(13)
	v_lshrrev_b32_e32 v3, 16, v12
	s_waitcnt vmcnt(12)
	v_mul_f16_sdwa v4, v34, v3 dst_sel:DWORD dst_unused:UNUSED_PAD src0_sel:WORD_1 src1_sel:DWORD
	v_mul_f16_sdwa v7, v34, v12 dst_sel:DWORD dst_unused:UNUSED_PAD src0_sel:WORD_1 src1_sel:DWORD
	v_fma_f16 v4, v34, v12, v4
	v_fma_f16 v3, v34, v3, -v7
	v_pack_b32_f16 v3, v4, v3
	ds_write2_b32 v31, v2, v3 offset0:40 offset1:48
	s_waitcnt vmcnt(10)
	v_lshrrev_b32_e32 v2, 16, v13
	v_mul_f16_sdwa v3, v33, v2 dst_sel:DWORD dst_unused:UNUSED_PAD src0_sel:WORD_1 src1_sel:DWORD
	v_mul_f16_sdwa v4, v33, v13 dst_sel:DWORD dst_unused:UNUSED_PAD src0_sel:WORD_1 src1_sel:DWORD
	v_fma_f16 v3, v33, v13, v3
	v_fma_f16 v2, v33, v2, -v4
	v_pack_b32_f16 v2, v3, v2
	s_waitcnt vmcnt(8)
	v_lshrrev_b32_e32 v3, 16, v15
	v_mul_f16_sdwa v4, v32, v3 dst_sel:DWORD dst_unused:UNUSED_PAD src0_sel:WORD_1 src1_sel:DWORD
	v_mul_f16_sdwa v7, v32, v15 dst_sel:DWORD dst_unused:UNUSED_PAD src0_sel:WORD_1 src1_sel:DWORD
	v_fma_f16 v4, v32, v15, v4
	v_fma_f16 v3, v32, v3, -v7
	v_pack_b32_f16 v3, v4, v3
	ds_write2_b32 v31, v2, v3 offset0:56 offset1:64
	s_waitcnt vmcnt(7)
	v_lshrrev_b32_e32 v2, 16, v16
	s_waitcnt vmcnt(6)
	v_mul_f16_sdwa v3, v30, v2 dst_sel:DWORD dst_unused:UNUSED_PAD src0_sel:WORD_1 src1_sel:DWORD
	v_mul_f16_sdwa v4, v30, v16 dst_sel:DWORD dst_unused:UNUSED_PAD src0_sel:WORD_1 src1_sel:DWORD
	v_fma_f16 v3, v30, v16, v3
	v_fma_f16 v2, v30, v2, -v4
	v_pack_b32_f16 v2, v3, v2
	s_waitcnt vmcnt(3)
	v_lshrrev_b32_e32 v3, 16, v17
	v_mul_f16_sdwa v4, v29, v3 dst_sel:DWORD dst_unused:UNUSED_PAD src0_sel:WORD_1 src1_sel:DWORD
	v_mul_f16_sdwa v7, v29, v17 dst_sel:DWORD dst_unused:UNUSED_PAD src0_sel:WORD_1 src1_sel:DWORD
	v_fma_f16 v4, v29, v17, v4
	v_fma_f16 v3, v29, v3, -v7
	v_pack_b32_f16 v3, v4, v3
	ds_write2_b32 v31, v2, v3 offset0:72 offset1:80
	s_waitcnt vmcnt(2)
	v_lshrrev_b32_e32 v2, 16, v18
	v_mul_f16_sdwa v3, v28, v2 dst_sel:DWORD dst_unused:UNUSED_PAD src0_sel:WORD_1 src1_sel:DWORD
	v_mul_f16_sdwa v4, v28, v18 dst_sel:DWORD dst_unused:UNUSED_PAD src0_sel:WORD_1 src1_sel:DWORD
	v_fma_f16 v3, v28, v18, v3
	v_fma_f16 v2, v28, v2, -v4
	v_pack_b32_f16 v2, v3, v2
	s_waitcnt vmcnt(1)
	v_lshrrev_b32_e32 v3, 16, v5
	s_waitcnt vmcnt(0)
	v_mul_f16_sdwa v4, v27, v3 dst_sel:DWORD dst_unused:UNUSED_PAD src0_sel:WORD_1 src1_sel:DWORD
	v_fma_f16 v4, v27, v5, v4
	v_mul_f16_sdwa v5, v27, v5 dst_sel:DWORD dst_unused:UNUSED_PAD src0_sel:WORD_1 src1_sel:DWORD
	v_fma_f16 v3, v27, v3, -v5
	v_pack_b32_f16 v3, v4, v3
	ds_write2_b32 v31, v2, v3 offset0:88 offset1:96
	v_mul_u32_u24_e32 v2, 13, v39
	s_waitcnt lgkmcnt(0)
	; wave barrier
	s_waitcnt lgkmcnt(0)
	v_add_lshl_u32 v23, v25, v2, 2
	ds_read2_b32 v[15:16], v31 offset0:24 offset1:32
	ds_read_b32 v7, v42
	ds_read2_b32 v[8:9], v31 offset0:8 offset1:16
	ds_read2_b32 v[2:3], v31 offset0:40 offset1:48
	;; [unrolled: 1-line block ×5, first 2 shown]
	s_waitcnt lgkmcnt(4)
	v_pk_add_f16 v10, v7, v8
	v_pk_add_f16 v10, v10, v9
	;; [unrolled: 1-line block ×4, first 2 shown]
	s_waitcnt lgkmcnt(3)
	v_pk_add_f16 v10, v10, v2
	v_pk_add_f16 v10, v10, v3
	s_waitcnt lgkmcnt(2)
	v_pk_add_f16 v10, v10, v4
	v_pk_add_f16 v10, v10, v5
	;; [unrolled: 3-line block ×4, first 2 shown]
	v_pk_add_f16 v10, v8, v18 neg_lo:[0,1] neg_hi:[0,1]
	v_pk_add_f16 v11, v18, v8
	v_mul_f16_sdwa v8, v10, s0 dst_sel:DWORD dst_unused:UNUSED_PAD src0_sel:WORD_1 src1_sel:DWORD
	s_movk_i32 s0, 0x3b15
	v_fma_f16 v13, v11, s0, -v8
	v_fma_f16 v8, v11, s0, v8
	v_add_f16_e32 v20, v7, v8
	v_pk_mul_f16 v8, v11, s1
	s_mov_b32 s1, 0xba95b770
	v_pk_fma_f16 v26, v10, s1, v8 op_sel:[0,0,1] op_sel_hi:[1,1,0] neg_lo:[1,0,0] neg_hi:[1,0,0]
	v_pk_fma_f16 v8, v10, s1, v8 op_sel:[0,0,1] op_sel_hi:[1,1,0]
	v_add_f16_e32 v19, v7, v13
	v_bfi_b32 v13, s21, v8, v26
	v_pk_add_f16 v43, v7, v13 op_sel:[1,0] op_sel_hi:[0,1]
	v_lshrrev_b32_e32 v13, 16, v11
	v_mul_f16_e32 v18, 0xba95, v10
	v_fma_f16 v44, v13, s2, v18
	v_fma_f16 v18, v13, s2, -v18
	v_add_f16_sdwa v45, v7, v18 dst_sel:DWORD dst_unused:UNUSED_PAD src0_sel:WORD_1 src1_sel:DWORD
	v_mul_f16_sdwa v18, v10, s23 dst_sel:DWORD dst_unused:UNUSED_PAD src0_sel:WORD_1 src1_sel:DWORD
	s_movk_i32 s1, 0x2fb7
	v_fma_f16 v46, v11, s1, -v18
	v_mul_f16_e32 v47, 0xbbf1, v10
	v_fma_f16 v18, v11, s1, v18
	v_add_f16_e32 v49, v7, v18
	v_fma_f16 v18, v13, s1, -v47
	v_fma_f16 v48, v13, s1, v47
	v_add_f16_sdwa v47, v7, v18 dst_sel:DWORD dst_unused:UNUSED_PAD src0_sel:WORD_1 src1_sel:DWORD
	v_mul_f16_sdwa v18, v10, s3 dst_sel:DWORD dst_unused:UNUSED_PAD src0_sel:WORD_1 src1_sel:DWORD
	v_fma_f16 v50, v11, s12, -v18
	v_mul_f16_e32 v51, 0xbb7b, v10
	v_fma_f16 v18, v11, s12, v18
	v_add_f16_e32 v53, v7, v18
	v_fma_f16 v18, v13, s12, -v51
	v_mul_f16_e32 v55, 0xb94e, v10
	v_fma_f16 v52, v13, s12, v51
	v_add_f16_sdwa v51, v7, v18 dst_sel:DWORD dst_unused:UNUSED_PAD src0_sel:WORD_1 src1_sel:DWORD
	v_mul_f16_sdwa v18, v10, s13 dst_sel:DWORD dst_unused:UNUSED_PAD src0_sel:WORD_1 src1_sel:DWORD
	v_fma_f16 v56, v13, s16, v55
	v_fma_f16 v13, v13, s16, -v55
	v_fma_f16 v54, v11, s16, -v18
	v_fma_f16 v18, v11, s16, v18
	v_add_f16_sdwa v55, v7, v13 dst_sel:DWORD dst_unused:UNUSED_PAD src0_sel:WORD_1 src1_sel:DWORD
	v_pk_add_f16 v13, v9, v17 neg_lo:[0,1] neg_hi:[0,1]
	v_add_f16_e32 v57, v7, v18
	v_pk_add_f16 v18, v17, v9
	v_mul_f16_sdwa v9, v13, s22 dst_sel:DWORD dst_unused:UNUSED_PAD src0_sel:WORD_1 src1_sel:DWORD
	v_fma_f16 v17, v18, s2, -v9
	v_add_f16_e32 v17, v17, v19
	v_pk_mul_f16 v19, v18, s17
	s_mov_b32 s17, 0xbb7bba95
	v_pk_fma_f16 v58, v13, s17, v19 op_sel:[0,0,1] op_sel_hi:[1,1,0] neg_lo:[1,0,0] neg_hi:[1,0,0]
	v_pk_fma_f16 v59, v13, s17, v19 op_sel:[0,0,1] op_sel_hi:[1,1,0]
	v_fma_f16 v9, v18, s2, v9
	v_bfi_b32 v19, s21, v59, v58
	v_add_f16_e32 v9, v9, v20
	v_pk_add_f16 v43, v19, v43
	v_lshrrev_b32_e32 v19, 16, v18
	v_mul_f16_e32 v20, 0xbb7b, v13
	v_fma_f16 v60, v19, s12, v20
	v_fma_f16 v20, v19, s12, -v20
	s_mov_b32 s17, 0xb3a8
	v_add_f16_sdwa v44, v7, v44 dst_sel:DWORD dst_unused:UNUSED_PAD src0_sel:WORD_1 src1_sel:DWORD
	v_add_f16_e32 v45, v20, v45
	v_mul_f16_sdwa v20, v13, s17 dst_sel:DWORD dst_unused:UNUSED_PAD src0_sel:WORD_1 src1_sel:DWORD
	v_add_f16_e32 v46, v7, v46
	v_add_f16_e32 v44, v60, v44
	v_fma_f16 v60, v18, s18, -v20
	v_add_f16_e32 v46, v60, v46
	v_mul_f16_e32 v60, 0xb3a8, v13
	v_fma_f16 v20, v18, s18, v20
	v_add_f16_e32 v49, v20, v49
	v_fma_f16 v20, v19, s18, -v60
	v_add_f16_e32 v47, v20, v47
	v_mul_f16_sdwa v20, v13, s19 dst_sel:DWORD dst_unused:UNUSED_PAD src0_sel:WORD_1 src1_sel:DWORD
	v_add_f16_e32 v50, v7, v50
	v_fma_f16 v61, v19, s18, v60
	v_fma_f16 v60, v18, s16, -v20
	v_add_f16_e32 v50, v60, v50
	v_mul_f16_e32 v60, 0x394e, v13
	v_fma_f16 v20, v18, s16, v20
	v_add_f16_e32 v53, v20, v53
	v_fma_f16 v20, v19, s16, -v60
	s_movk_i32 s19, 0x3bf1
	v_add_f16_sdwa v48, v7, v48 dst_sel:DWORD dst_unused:UNUSED_PAD src0_sel:WORD_1 src1_sel:DWORD
	v_add_f16_e32 v51, v20, v51
	v_mul_f16_sdwa v20, v13, s19 dst_sel:DWORD dst_unused:UNUSED_PAD src0_sel:WORD_1 src1_sel:DWORD
	v_add_f16_e32 v54, v7, v54
	v_add_f16_e32 v48, v61, v48
	v_fma_f16 v61, v19, s16, v60
	v_fma_f16 v60, v18, s1, -v20
	v_add_f16_sdwa v52, v7, v52 dst_sel:DWORD dst_unused:UNUSED_PAD src0_sel:WORD_1 src1_sel:DWORD
	v_add_f16_e32 v54, v60, v54
	v_mul_f16_e32 v60, 0x3bf1, v13
	v_add_f16_e32 v52, v61, v52
	v_fma_f16 v61, v19, s1, v60
	v_fma_f16 v19, v19, s1, -v60
	v_fma_f16 v20, v18, s1, v20
	v_add_f16_e32 v55, v19, v55
	v_pk_add_f16 v19, v15, v22 neg_lo:[0,1] neg_hi:[0,1]
	v_add_f16_e32 v57, v20, v57
	v_pk_add_f16 v20, v22, v15
	v_mul_f16_sdwa v15, v19, s23 dst_sel:DWORD dst_unused:UNUSED_PAD src0_sel:WORD_1 src1_sel:DWORD
	v_fma_f16 v22, v20, s1, -v15
	v_fma_f16 v15, v20, s1, v15
	v_add_f16_e32 v9, v15, v9
	v_pk_mul_f16 v15, v20, s20
	s_mov_b32 s20, 0xb3a8bbf1
	v_pk_fma_f16 v60, v19, s20, v15 op_sel:[0,0,1] op_sel_hi:[1,1,0] neg_lo:[1,0,0] neg_hi:[1,0,0]
	v_pk_fma_f16 v15, v19, s20, v15 op_sel:[0,0,1] op_sel_hi:[1,1,0]
	v_add_f16_sdwa v56, v7, v56 dst_sel:DWORD dst_unused:UNUSED_PAD src0_sel:WORD_1 src1_sel:DWORD
	v_add_f16_e32 v17, v22, v17
	v_bfi_b32 v22, s21, v15, v60
	v_add_f16_e32 v56, v61, v56
	v_pk_add_f16 v43, v22, v43
	v_lshrrev_b32_e32 v22, 16, v20
	v_mul_f16_e32 v61, 0xb3a8, v19
	v_fma_f16 v62, v22, s18, v61
	v_fma_f16 v61, v22, s18, -v61
	s_movk_i32 s20, 0x3b7b
	v_add_f16_e32 v45, v61, v45
	v_mul_f16_sdwa v61, v19, s20 dst_sel:DWORD dst_unused:UNUSED_PAD src0_sel:WORD_1 src1_sel:DWORD
	v_add_f16_e32 v44, v62, v44
	v_fma_f16 v62, v20, s12, -v61
	v_add_f16_e32 v46, v62, v46
	v_mul_f16_e32 v62, 0x3b7b, v19
	v_fma_f16 v61, v20, s12, v61
	v_add_f16_e32 v49, v61, v49
	v_fma_f16 v61, v22, s12, -v62
	s_movk_i32 s20, 0x3770
	v_add_f16_e32 v47, v61, v47
	v_mul_f16_sdwa v61, v19, s20 dst_sel:DWORD dst_unused:UNUSED_PAD src0_sel:WORD_1 src1_sel:DWORD
	v_fma_f16 v63, v22, s12, v62
	v_fma_f16 v62, v20, s0, -v61
	v_add_f16_e32 v50, v62, v50
	v_mul_f16_e32 v62, 0x3770, v19
	v_fma_f16 v61, v20, s0, v61
	v_add_f16_e32 v53, v61, v53
	v_fma_f16 v61, v22, s0, -v62
	v_add_f16_e32 v51, v61, v51
	v_mul_f16_sdwa v61, v19, s22 dst_sel:DWORD dst_unused:UNUSED_PAD src0_sel:WORD_1 src1_sel:DWORD
	v_add_f16_e32 v48, v63, v48
	v_fma_f16 v63, v22, s0, v62
	v_fma_f16 v62, v20, s2, -v61
	v_add_f16_e32 v54, v62, v54
	v_mul_f16_e32 v62, 0xba95, v19
	v_add_f16_e32 v52, v63, v52
	v_fma_f16 v63, v22, s2, v62
	v_fma_f16 v22, v22, s2, -v62
	v_add_f16_e32 v55, v22, v55
	v_pk_add_f16 v22, v21, v16
	v_pk_add_f16 v21, v16, v21 neg_lo:[0,1] neg_hi:[0,1]
	v_fma_f16 v61, v20, s2, v61
	v_mul_f16_sdwa v16, v21, s3 dst_sel:DWORD dst_unused:UNUSED_PAD src0_sel:WORD_1 src1_sel:DWORD
	v_add_f16_e32 v57, v61, v57
	v_fma_f16 v61, v22, s12, -v16
	v_fma_f16 v16, v22, s12, v16
	v_add_f16_e32 v9, v16, v9
	v_pk_mul_f16 v16, v22, s24
	s_mov_b32 s24, 0x394ebb7b
	v_add_f16_e32 v17, v61, v17
	v_pk_fma_f16 v61, v21, s24, v16 op_sel:[0,0,1] op_sel_hi:[1,1,0] neg_lo:[1,0,0] neg_hi:[1,0,0]
	v_pk_fma_f16 v16, v21, s24, v16 op_sel:[0,0,1] op_sel_hi:[1,1,0]
	v_bfi_b32 v62, s21, v16, v61
	v_add_f16_e32 v56, v63, v56
	v_pk_add_f16 v43, v62, v43
	v_lshrrev_b32_e32 v62, 16, v22
	v_mul_f16_e32 v63, 0x394e, v21
	v_fma_f16 v64, v62, s16, v63
	v_fma_f16 v63, v62, s16, -v63
	v_add_f16_e32 v45, v63, v45
	v_mul_f16_sdwa v63, v21, s20 dst_sel:DWORD dst_unused:UNUSED_PAD src0_sel:WORD_1 src1_sel:DWORD
	v_add_f16_e32 v44, v64, v44
	v_fma_f16 v64, v22, s0, -v63
	v_add_f16_e32 v64, v64, v46
	v_mul_f16_e32 v46, 0x3770, v21
	v_fma_f16 v65, v62, s0, v46
	v_fma_f16 v46, v62, s0, -v46
	v_fma_f16 v63, v22, s0, v63
	v_add_f16_e32 v47, v46, v47
	v_mul_f16_sdwa v46, v21, s23 dst_sel:DWORD dst_unused:UNUSED_PAD src0_sel:WORD_1 src1_sel:DWORD
	v_add_f16_e32 v49, v63, v49
	v_fma_f16 v63, v22, s1, -v46
	v_add_f16_e32 v50, v63, v50
	v_mul_f16_e32 v63, 0xbbf1, v21
	v_fma_f16 v46, v22, s1, v46
	v_add_f16_e32 v53, v46, v53
	v_fma_f16 v46, v62, s1, -v63
	s_movk_i32 s23, 0x33a8
	v_add_f16_e32 v51, v46, v51
	v_mul_f16_sdwa v46, v21, s23 dst_sel:DWORD dst_unused:UNUSED_PAD src0_sel:WORD_1 src1_sel:DWORD
	v_add_f16_e32 v48, v65, v48
	v_fma_f16 v65, v62, s1, v63
	v_fma_f16 v63, v22, s18, -v46
	v_add_f16_e32 v54, v63, v54
	v_mul_f16_e32 v63, 0x33a8, v21
	v_fma_f16 v46, v22, s18, v46
	v_add_f16_e32 v57, v46, v57
	v_fma_f16 v46, v62, s18, -v63
	v_add_f16_e32 v55, v46, v55
	v_pk_add_f16 v46, v5, v2
	v_pk_add_f16 v2, v2, v5 neg_lo:[0,1] neg_hi:[0,1]
	v_mul_f16_sdwa v5, v2, s13 dst_sel:DWORD dst_unused:UNUSED_PAD src0_sel:WORD_1 src1_sel:DWORD
	v_add_f16_e32 v52, v65, v52
	v_fma_f16 v65, v62, s18, v63
	v_fma_f16 v62, v46, s16, -v5
	v_fma_f16 v5, v46, s16, v5
	s_mov_b32 s24, 0xb9fd2fb7
	v_add_f16_e32 v5, v5, v9
	v_pk_mul_f16 v9, v46, s24
	s_mov_b32 s24, 0x3bf1b94e
	v_add_f16_e32 v17, v62, v17
	v_pk_fma_f16 v62, v2, s24, v9 op_sel:[0,0,1] op_sel_hi:[1,1,0] neg_lo:[1,0,0] neg_hi:[1,0,0]
	v_pk_fma_f16 v9, v2, s24, v9 op_sel:[0,0,1] op_sel_hi:[1,1,0]
	v_bfi_b32 v63, s21, v9, v62
	v_add_f16_e32 v56, v65, v56
	v_pk_add_f16 v63, v63, v43
	v_lshrrev_b32_e32 v43, 16, v46
	v_mul_f16_e32 v65, 0x3bf1, v2
	v_fma_f16 v66, v43, s1, v65
	v_fma_f16 v65, v43, s1, -v65
	v_add_f16_e32 v45, v65, v45
	v_mul_f16_sdwa v65, v2, s22 dst_sel:DWORD dst_unused:UNUSED_PAD src0_sel:WORD_1 src1_sel:DWORD
	v_add_f16_e32 v44, v66, v44
	v_fma_f16 v66, v46, s2, -v65
	v_add_f16_e32 v64, v66, v64
	v_mul_f16_e32 v66, 0xba95, v2
	v_fma_f16 v65, v46, s2, v65
	v_add_f16_e32 v49, v65, v49
	v_fma_f16 v65, v43, s2, -v66
	v_add_f16_e32 v47, v65, v47
	v_mul_f16_sdwa v65, v2, s23 dst_sel:DWORD dst_unused:UNUSED_PAD src0_sel:WORD_1 src1_sel:DWORD
	v_fma_f16 v67, v43, s2, v66
	v_fma_f16 v66, v46, s18, -v65
	v_add_f16_e32 v50, v66, v50
	v_mul_f16_e32 v66, 0x33a8, v2
	v_fma_f16 v65, v46, s18, v65
	v_add_f16_e32 v53, v65, v53
	v_fma_f16 v65, v43, s18, -v66
	v_add_f16_e32 v51, v65, v51
	v_mul_f16_sdwa v65, v2, s20 dst_sel:DWORD dst_unused:UNUSED_PAD src0_sel:WORD_1 src1_sel:DWORD
	v_add_f16_e32 v48, v67, v48
	v_fma_f16 v67, v43, s18, v66
	v_fma_f16 v66, v46, s0, -v65
	v_fma_f16 v65, v46, s0, v65
	v_add_f16_e32 v54, v66, v54
	v_mul_f16_e32 v66, 0x3770, v2
	v_add_f16_e32 v57, v65, v57
	v_pk_add_f16 v65, v4, v3
	v_pk_add_f16 v3, v3, v4 neg_lo:[0,1] neg_hi:[0,1]
	v_add_f16_sdwa v26, v7, v26 dst_sel:DWORD dst_unused:UNUSED_PAD src0_sel:WORD_1 src1_sel:DWORD
	v_add_f16_e32 v52, v67, v52
	v_fma_f16 v67, v43, s0, v66
	v_fma_f16 v43, v43, s0, -v66
	v_mul_f16_sdwa v4, v3, s17 dst_sel:DWORD dst_unused:UNUSED_PAD src0_sel:WORD_1 src1_sel:DWORD
	v_add_f16_e32 v26, v58, v26
	v_add_f16_sdwa v8, v7, v8 dst_sel:DWORD dst_unused:UNUSED_PAD src0_sel:DWORD src1_sel:WORD_1
	v_add_f16_e32 v55, v43, v55
	v_fma_f16 v43, v65, s18, -v4
	v_fma_f16 v4, v65, s18, v4
	s_mov_b32 s22, 0xbbc43b15
	v_add_f16_e32 v26, v60, v26
	v_add_f16_sdwa v8, v59, v8 dst_sel:DWORD dst_unused:UNUSED_PAD src0_sel:WORD_1 src1_sel:DWORD
	v_add_f16_e32 v66, v43, v17
	v_add_f16_e32 v17, v4, v5
	v_pk_mul_f16 v4, v65, s22
	s_mov_b32 s22, 0x3770b3a8
	v_add_f16_e32 v26, v61, v26
	v_add_f16_sdwa v8, v15, v8 dst_sel:DWORD dst_unused:UNUSED_PAD src0_sel:WORD_1 src1_sel:DWORD
	v_pk_fma_f16 v5, v3, s22, v4 op_sel:[0,0,1] op_sel_hi:[1,1,0] neg_lo:[1,0,0] neg_hi:[1,0,0]
	v_add_f16_e32 v26, v62, v26
	v_add_f16_sdwa v8, v16, v8 dst_sel:DWORD dst_unused:UNUSED_PAD src0_sel:WORD_1 src1_sel:DWORD
	v_add_f16_e32 v43, v5, v26
	v_pk_fma_f16 v4, v3, s22, v4 op_sel:[0,0,1] op_sel_hi:[1,1,0]
	v_lshrrev_b32_e32 v26, 16, v65
	v_mul_f16_e32 v58, 0x3770, v3
	v_add_f16_sdwa v8, v9, v8 dst_sel:DWORD dst_unused:UNUSED_PAD src0_sel:WORD_1 src1_sel:DWORD
	v_bfi_b32 v5, s21, v4, v5
	v_fma_f16 v60, v26, s0, v58
	v_add_f16_sdwa v9, v4, v8 dst_sel:DWORD dst_unused:UNUSED_PAD src0_sel:WORD_1 src1_sel:DWORD
	v_fma_f16 v4, v26, s0, -v58
	v_add_f16_e32 v60, v60, v44
	v_add_f16_e32 v44, v4, v45
	v_mul_f16_sdwa v4, v3, s13 dst_sel:DWORD dst_unused:UNUSED_PAD src0_sel:WORD_1 src1_sel:DWORD
	v_fma_f16 v8, v65, s16, -v4
	v_mul_f16_e32 v15, 0xb94e, v3
	v_add_f16_e32 v58, v8, v64
	v_fma_f16 v8, v26, s16, v15
	v_fma_f16 v4, v65, s16, v4
	v_add_f16_e32 v48, v8, v48
	v_add_f16_e32 v8, v4, v49
	v_fma_f16 v4, v26, s16, -v15
	s_movk_i32 s21, 0x3a95
	v_add_f16_e32 v45, v4, v47
	v_mul_f16_sdwa v4, v3, s21 dst_sel:DWORD dst_unused:UNUSED_PAD src0_sel:WORD_1 src1_sel:DWORD
	v_fma_f16 v15, v65, s2, -v4
	v_add_f16_e32 v49, v15, v50
	v_mul_f16_e32 v15, 0x3a95, v3
	v_fma_f16 v16, v26, s2, v15
	v_fma_f16 v4, v65, s2, v4
	v_add_f16_e32 v50, v16, v52
	v_add_f16_e32 v16, v4, v53
	v_fma_f16 v4, v26, s2, -v15
	v_add_f16_e32 v47, v4, v51
	v_mul_f16_sdwa v4, v3, s3 dst_sel:DWORD dst_unused:UNUSED_PAD src0_sel:WORD_1 src1_sel:DWORD
	v_fma_f16 v15, v65, s12, -v4
	v_mul_f16_e32 v52, 0xbb7b, v3
	v_add_f16_e32 v56, v67, v56
	v_add_f16_e32 v51, v15, v54
	v_fma_f16 v15, v26, s12, v52
	v_fma_f16 v4, v65, s12, v4
	v_pk_add_f16 v5, v5, v63
	v_add_f16_e32 v53, v15, v56
	v_add_f16_e32 v15, v4, v57
	v_fma_f16 v4, v26, s12, -v52
	v_add_f16_e32 v26, v4, v55
	v_alignbit_b32 v4, v60, v5, 16
	v_pack_b32_f16 v5, v66, v5
	s_waitcnt lgkmcnt(0)
	; wave barrier
	ds_write2_b32 v23, v5, v4 offset0:1 offset1:2
	v_pack_b32_f16 v4, v49, v50
	v_pack_b32_f16 v5, v58, v48
	ds_write2_b32 v23, v5, v4 offset0:3 offset1:4
	v_pack_b32_f16 v4, v51, v53
	ds_write2_b32 v23, v12, v4 offset1:5
	v_pk_mul_f16 v4, v11, s18 op_sel_hi:[1,0]
	v_pk_fma_f16 v5, v10, s17, v4 op_sel:[0,0,1] op_sel_hi:[1,0,0] neg_lo:[1,0,0] neg_hi:[1,0,0]
	v_pk_fma_f16 v4, v10, s17, v4 op_sel:[0,0,1] op_sel_hi:[1,0,0]
	v_pk_add_f16 v5, v7, v5 op_sel:[1,0] op_sel_hi:[0,1]
	v_pk_add_f16 v4, v7, v4 op_sel:[1,0] op_sel_hi:[0,1]
	v_pk_mul_f16 v7, v18, s0 op_sel_hi:[1,0]
	v_pk_fma_f16 v10, v13, s20, v7 op_sel:[0,0,1] op_sel_hi:[1,0,0] neg_lo:[1,0,0] neg_hi:[1,0,0]
	v_pk_fma_f16 v7, v13, s20, v7 op_sel:[0,0,1] op_sel_hi:[1,0,0]
	v_pk_add_f16 v4, v7, v4
	v_pk_mul_f16 v7, v20, s16 op_sel_hi:[1,0]
	v_pk_add_f16 v5, v10, v5
	v_pk_fma_f16 v10, v19, s13, v7 op_sel:[0,0,1] op_sel_hi:[1,0,0] neg_lo:[1,0,0] neg_hi:[1,0,0]
	v_pk_fma_f16 v7, v19, s13, v7 op_sel:[0,0,1] op_sel_hi:[1,0,0]
	v_pk_add_f16 v4, v7, v4
	v_pk_mul_f16 v7, v22, s2 op_sel_hi:[1,0]
	v_pk_add_f16 v5, v10, v5
	v_pk_fma_f16 v10, v21, s21, v7 op_sel:[0,0,1] op_sel_hi:[1,0,0] neg_lo:[1,0,0] neg_hi:[1,0,0]
	v_pk_fma_f16 v7, v21, s21, v7 op_sel:[0,0,1] op_sel_hi:[1,0,0]
	v_pk_add_f16 v4, v7, v4
	v_pk_mul_f16 v7, v46, s12 op_sel_hi:[1,0]
	v_pk_add_f16 v5, v10, v5
	v_pk_fma_f16 v10, v2, s3, v7 op_sel:[0,0,1] op_sel_hi:[1,0,0] neg_lo:[1,0,0] neg_hi:[1,0,0]
	v_pk_fma_f16 v2, v2, s3, v7 op_sel:[0,0,1] op_sel_hi:[1,0,0]
	v_pk_add_f16 v2, v2, v4
	v_pk_mul_f16 v4, v65, s1 op_sel_hi:[1,0]
	v_pk_add_f16 v5, v10, v5
	v_pk_fma_f16 v7, v3, s19, v4 op_sel:[0,0,1] op_sel_hi:[1,0,0] neg_lo:[1,0,0] neg_hi:[1,0,0]
	v_pk_fma_f16 v3, v3, s19, v4 op_sel:[0,0,1] op_sel_hi:[1,0,0]
	v_pk_add_f16 v5, v7, v5
	v_pk_add_f16 v2, v3, v2
	v_alignbit_b32 v3, v5, v2, 16
	v_alignbit_b32 v2, v2, v5, 16
	ds_write2_b32 v23, v2, v3 offset0:6 offset1:7
	v_pack_b32_f16 v2, v16, v47
	v_pack_b32_f16 v3, v15, v26
	ds_write2_b32 v23, v3, v2 offset0:8 offset1:9
	v_pack_b32_f16 v2, v9, v44
	v_pack_b32_f16 v3, v8, v45
	ds_write2_b32 v23, v3, v2 offset0:10 offset1:11
	v_pack_b32_f16 v2, v17, v43
	ds_write_b32 v23, v2 offset:48
	s_waitcnt lgkmcnt(0)
	; wave barrier
	s_waitcnt lgkmcnt(0)
	ds_read2_b32 v[12:13], v31 offset0:13 offset1:26
	ds_read2_b32 v[10:11], v31 offset0:39 offset1:52
	;; [unrolled: 1-line block ×3, first 2 shown]
	ds_read_b32 v46, v42
	ds_read_b32 v51, v31 offset:364
	v_or_b32_e32 v0, 8, v39
	v_cmp_gt_u64_e32 vcc, 13, v[0:1]
	v_add_co_u32_e64 v19, s[0:1], s8, v24
	v_addc_co_u32_e64 v20, s[0:1], 0, v6, s[0:1]
                                        ; implicit-def: $vgpr22
                                        ; implicit-def: $vgpr48
                                        ; implicit-def: $vgpr49
                                        ; implicit-def: $vgpr50
	s_and_saveexec_b64 s[0:1], vcc
	s_cbranch_execz .LBB0_3
; %bb.2:
	ds_read2_b32 v[15:16], v31 offset0:8 offset1:21
	ds_read2_b32 v[8:9], v31 offset0:34 offset1:47
	;; [unrolled: 1-line block ×4, first 2 shown]
	s_waitcnt lgkmcnt(3)
	v_lshrrev_b32_e32 v26, 16, v15
	v_lshrrev_b32_e32 v47, 16, v16
	s_waitcnt lgkmcnt(2)
	v_lshrrev_b32_e32 v45, 16, v8
	v_lshrrev_b32_e32 v44, 16, v9
	;; [unrolled: 3-line block ×4, first 2 shown]
.LBB0_3:
	s_or_b64 exec, exec, s[0:1]
	v_mad_u64_u32 v[52:53], s[0:1], v39, 28, s[10:11]
	s_waitcnt lgkmcnt(4)
	v_lshrrev_b32_e32 v1, 16, v12
	v_lshrrev_b32_e32 v55, 16, v13
	global_load_dwordx4 v[4:7], v[52:53], off
	s_waitcnt lgkmcnt(3)
	v_lshrrev_b32_e32 v56, 16, v10
	v_lshrrev_b32_e32 v57, 16, v11
	s_waitcnt lgkmcnt(2)
	v_lshrrev_b32_e32 v58, 16, v2
	v_lshrrev_b32_e32 v59, 16, v3
	;; [unrolled: 3-line block ×3, first 2 shown]
	s_waitcnt vmcnt(0)
	v_mul_f16_sdwa v61, v1, v4 dst_sel:DWORD dst_unused:UNUSED_PAD src0_sel:DWORD src1_sel:WORD_1
	v_fma_f16 v61, v12, v4, -v61
	v_mul_f16_sdwa v12, v12, v4 dst_sel:DWORD dst_unused:UNUSED_PAD src0_sel:DWORD src1_sel:WORD_1
	v_fma_f16 v62, v1, v4, v12
	v_mul_f16_sdwa v1, v55, v5 dst_sel:DWORD dst_unused:UNUSED_PAD src0_sel:DWORD src1_sel:WORD_1
	v_fma_f16 v63, v13, v5, -v1
	v_mul_f16_sdwa v1, v13, v5 dst_sel:DWORD dst_unused:UNUSED_PAD src0_sel:DWORD src1_sel:WORD_1
	v_fma_f16 v55, v55, v5, v1
	;; [unrolled: 4-line block ×3, first 2 shown]
	v_mul_f16_sdwa v1, v57, v7 dst_sel:DWORD dst_unused:UNUSED_PAD src0_sel:DWORD src1_sel:WORD_1
	v_fma_f16 v65, v11, v7, -v1
	v_mul_f16_sdwa v1, v11, v7 dst_sel:DWORD dst_unused:UNUSED_PAD src0_sel:DWORD src1_sel:WORD_1
	global_load_dwordx3 v[11:13], v[52:53], off offset:16
	v_fma_f16 v57, v57, v7, v1
	s_waitcnt vmcnt(0)
	v_mul_f16_sdwa v1, v58, v11 dst_sel:DWORD dst_unused:UNUSED_PAD src0_sel:DWORD src1_sel:WORD_1
	v_fma_f16 v53, v2, v11, -v1
	v_mul_f16_sdwa v1, v2, v11 dst_sel:DWORD dst_unused:UNUSED_PAD src0_sel:DWORD src1_sel:WORD_1
	v_fma_f16 v58, v58, v11, v1
	v_mul_f16_sdwa v1, v59, v12 dst_sel:DWORD dst_unused:UNUSED_PAD src0_sel:DWORD src1_sel:WORD_1
	v_fma_f16 v66, v3, v12, -v1
	v_mul_f16_sdwa v1, v3, v12 dst_sel:DWORD dst_unused:UNUSED_PAD src0_sel:DWORD src1_sel:WORD_1
	v_fma_f16 v59, v59, v12, v1
	;; [unrolled: 4-line block ×3, first 2 shown]
	v_add_u32_e32 v1, -5, v39
	v_cndmask_b32_e32 v0, v1, v0, vcc
	v_mul_hi_i32_i24_e32 v1, 28, v0
	v_mul_i32_i24_e32 v0, 28, v0
	v_add_co_u32_e64 v51, s[0:1], s10, v0
	v_mov_b32_e32 v0, s11
	v_addc_co_u32_e64 v52, s[0:1], v0, v1, s[0:1]
	global_load_dwordx4 v[0:3], v[51:52], off
	v_sub_f16_e32 v53, v61, v53
	v_sub_f16_e32 v58, v62, v58
	v_fma_f16 v61, v61, 2.0, -v53
	v_sub_f16_e32 v60, v56, v60
	v_fma_f16 v62, v62, 2.0, -v58
	v_fma_f16 v56, v56, 2.0, -v60
	v_sub_f16_e32 v56, v62, v56
	v_sub_f16_e32 v60, v53, v60
	v_fma_f16 v62, v62, 2.0, -v56
	v_fma_f16 v53, v53, 2.0, -v60
	s_mov_b32 s0, 0xb9a8
	s_movk_i32 s1, 0x39a8
	s_waitcnt vmcnt(0)
	v_mul_f16_sdwa v10, v47, v0 dst_sel:DWORD dst_unused:UNUSED_PAD src0_sel:DWORD src1_sel:WORD_1
	v_fma_f16 v68, v16, v0, -v10
	v_mul_f16_sdwa v10, v16, v0 dst_sel:DWORD dst_unused:UNUSED_PAD src0_sel:DWORD src1_sel:WORD_1
	v_fma_f16 v16, v47, v0, v10
	v_mul_f16_sdwa v10, v45, v1 dst_sel:DWORD dst_unused:UNUSED_PAD src0_sel:DWORD src1_sel:WORD_1
	v_fma_f16 v47, v8, v1, -v10
	v_mul_f16_sdwa v8, v8, v1 dst_sel:DWORD dst_unused:UNUSED_PAD src0_sel:DWORD src1_sel:WORD_1
	v_fma_f16 v45, v45, v1, v8
	;; [unrolled: 4-line block ×4, first 2 shown]
	global_load_dwordx3 v[8:10], v[51:52], off offset:16
	s_waitcnt vmcnt(0)
	v_mul_f16_sdwa v43, v50, v8 dst_sel:DWORD dst_unused:UNUSED_PAD src0_sel:DWORD src1_sel:WORD_1
	v_fma_f16 v43, v18, v8, -v43
	v_mul_f16_sdwa v18, v18, v8 dst_sel:DWORD dst_unused:UNUSED_PAD src0_sel:DWORD src1_sel:WORD_1
	v_fma_f16 v50, v50, v8, v18
	v_mul_f16_sdwa v18, v49, v9 dst_sel:DWORD dst_unused:UNUSED_PAD src0_sel:DWORD src1_sel:WORD_1
	v_fma_f16 v51, v21, v9, -v18
	v_mul_f16_sdwa v18, v21, v9 dst_sel:DWORD dst_unused:UNUSED_PAD src0_sel:DWORD src1_sel:WORD_1
	v_fma_f16 v21, v49, v9, v18
	v_mul_f16_sdwa v18, v48, v10 dst_sel:DWORD dst_unused:UNUSED_PAD src0_sel:DWORD src1_sel:WORD_1
	v_fma_f16 v49, v22, v10, -v18
	v_mul_f16_sdwa v18, v22, v10 dst_sel:DWORD dst_unused:UNUSED_PAD src0_sel:DWORD src1_sel:WORD_1
	v_sub_f16_e32 v22, v54, v57
	v_fma_f16 v52, v54, 2.0, -v22
	v_sub_f16_e32 v54, v63, v66
	v_fma_f16 v48, v48, v10, v18
	v_sub_f16_e32 v18, v46, v65
	v_sub_f16_e32 v57, v55, v59
	v_fma_f16 v59, v63, 2.0, -v54
	v_sub_f16_e32 v63, v64, v67
	v_fma_f16 v46, v46, 2.0, -v18
	v_fma_f16 v64, v64, 2.0, -v63
	;; [unrolled: 1-line block ×3, first 2 shown]
	v_sub_f16_e32 v59, v46, v59
	v_sub_f16_e32 v64, v61, v64
	;; [unrolled: 1-line block ×3, first 2 shown]
	v_fma_f16 v46, v46, 2.0, -v59
	v_sub_f16_e32 v57, v18, v57
	v_fma_f16 v61, v61, 2.0, -v64
	v_fma_f16 v52, v52, 2.0, -v55
	v_add_f16_e32 v54, v22, v54
	v_fma_f16 v18, v18, 2.0, -v57
	v_add_f16_e32 v63, v58, v63
	v_sub_f16_e32 v61, v46, v61
	v_fma_f16 v22, v22, 2.0, -v54
	v_fma_f16 v58, v58, 2.0, -v63
	v_sub_f16_e32 v62, v52, v62
	v_fma_f16 v65, v46, 2.0, -v61
	v_fma_f16 v46, v53, s0, v18
	v_fma_f16 v66, v52, 2.0, -v62
	v_fma_f16 v52, v58, s0, v22
	v_fma_f16 v58, v58, s0, v46
	;; [unrolled: 1-line block ×3, first 2 shown]
	v_fma_f16 v71, v18, 2.0, -v58
	v_fma_f16 v18, v60, s1, v57
	v_sub_f16_e32 v46, v15, v70
	v_fma_f16 v72, v22, 2.0, -v67
	v_fma_f16 v22, v63, s1, v54
	v_fma_f16 v63, v63, s0, v18
	v_sub_f16_e32 v70, v26, v17
	v_fma_f16 v18, v15, 2.0, -v46
	v_sub_f16_e32 v15, v47, v51
	v_sub_f16_e32 v56, v59, v56
	v_add_f16_e32 v64, v55, v64
	v_fma_f16 v17, v26, 2.0, -v70
	v_sub_f16_e32 v51, v45, v21
	v_fma_f16 v26, v47, 2.0, -v15
	v_sub_f16_e32 v47, v68, v43
	v_sub_f16_e32 v73, v16, v50
	v_fma_f16 v59, v59, 2.0, -v56
	v_fma_f16 v55, v55, 2.0, -v64
	v_fma_f16 v60, v60, s1, v22
	v_fma_f16 v22, v68, 2.0, -v47
	v_fma_f16 v21, v16, 2.0, -v73
	v_sub_f16_e32 v16, v69, v49
	v_sub_f16_e32 v68, v44, v48
	;; [unrolled: 1-line block ×3, first 2 shown]
	v_pack_b32_f16 v65, v65, v66
	v_fma_f16 v57, v57, 2.0, -v63
	v_fma_f16 v54, v54, 2.0, -v60
	;; [unrolled: 1-line block ×3, first 2 shown]
	v_add_f16_e32 v53, v70, v15
	v_fma_f16 v50, v46, 2.0, -v52
	v_sub_f16_e32 v68, v47, v68
	v_add_f16_e32 v46, v73, v16
	ds_write_b32 v42, v65
	v_pack_b32_f16 v65, v71, v72
	v_pack_b32_f16 v55, v59, v55
	v_fma_f16 v45, v45, 2.0, -v51
	v_fma_f16 v48, v69, 2.0, -v16
	;; [unrolled: 1-line block ×5, first 2 shown]
	ds_write2_b32 v31, v65, v55 offset0:13 offset1:26
	v_pack_b32_f16 v54, v57, v54
	v_pack_b32_f16 v55, v61, v62
	v_sub_f16_e32 v43, v18, v26
	v_sub_f16_e32 v26, v17, v45
	;; [unrolled: 1-line block ×4, first 2 shown]
	v_fma_f16 v44, v16, s0, v50
	v_fma_f16 v45, v15, s0, v51
	;; [unrolled: 1-line block ×4, first 2 shown]
	ds_write2_b32 v31, v54, v55 offset0:39 offset1:52
	v_pack_b32_f16 v54, v58, v67
	v_pack_b32_f16 v55, v56, v64
	v_fma_f16 v15, v15, s0, v44
	v_fma_f16 v45, v16, s1, v45
	v_sub_f16_e32 v16, v43, v48
	v_add_f16_e32 v44, v26, v49
	v_fma_f16 v46, v46, s0, v47
	v_fma_f16 v47, v68, s1, v69
	ds_write2_b32 v31, v54, v55 offset0:65 offset1:78
	v_pack_b32_f16 v54, v63, v60
	ds_write_b32 v31, v54 offset:364
	s_and_saveexec_b64 s[0:1], vcc
	s_cbranch_execz .LBB0_5
; %bb.4:
	v_fma_f16 v18, v18, 2.0, -v43
	v_fma_f16 v22, v22, 2.0, -v49
	;; [unrolled: 1-line block ×4, first 2 shown]
	v_sub_f16_e32 v22, v18, v22
	v_sub_f16_e32 v21, v17, v21
	v_fma_f16 v50, v50, 2.0, -v15
	v_fma_f16 v51, v51, 2.0, -v45
	;; [unrolled: 1-line block ×8, first 2 shown]
	v_pack_b32_f16 v17, v18, v17
	v_pack_b32_f16 v18, v50, v51
	ds_write2_b32 v31, v17, v18 offset0:8 offset1:21
	v_pack_b32_f16 v17, v54, v55
	v_pack_b32_f16 v18, v52, v53
	s_mov_b32 s2, 0x5040100
	ds_write2_b32 v31, v17, v18 offset0:34 offset1:47
	v_pack_b32_f16 v17, v22, v21
	v_perm_b32 v18, v45, v15, s2
	ds_write2_b32 v31, v17, v18 offset0:60 offset1:73
	v_perm_b32 v17, v44, v16, s2
	v_perm_b32 v18, v47, v46, s2
	ds_write2_b32 v31, v17, v18 offset0:86 offset1:99
.LBB0_5:
	s_or_b64 exec, exec, s[0:1]
	s_waitcnt lgkmcnt(0)
	; wave barrier
	s_waitcnt lgkmcnt(0)
	global_load_dword v17, v[19:20], off offset:416
	s_add_u32 s0, s8, 0x1a0
	s_addc_u32 s1, s9, 0
	global_load_dword v26, v24, s[0:1] offset:32
	global_load_dword v50, v24, s[0:1] offset:64
	;; [unrolled: 1-line block ×10, first 2 shown]
	ds_read_b32 v18, v42
	global_load_dword v59, v24, s[0:1] offset:352
	global_load_dword v60, v24, s[0:1] offset:384
	v_lshl_add_u32 v43, v25, 2, v24
	s_mov_b32 s17, 0xb770
	s_movk_i32 s9, 0x3b15
	s_waitcnt lgkmcnt(0)
	v_lshrrev_b32_e32 v19, 16, v18
	s_mov_b32 s13, 0xba95
	s_mov_b32 s0, 0xffff
	s_movk_i32 s3, 0x388b
	s_mov_b32 s10, 0xbb7b
	s_mov_b32 s11, 0xb5ac
	s_movk_i32 s8, 0x3a95
	s_mov_b32 s22, 0xbbf1
	s_movk_i32 s1, 0x2fb7
	s_movk_i32 s18, 0x3b7b
	s_mov_b32 s19, 0xb3a8
	s_mov_b32 s20, 0xbbc4
	s_movk_i32 s2, 0x3bf1
	s_movk_i32 s21, 0x394e
	s_mov_b32 s12, 0xb94e
	s_movk_i32 s24, 0x3770
	s_waitcnt vmcnt(12)
	v_mul_f16_sdwa v20, v19, v17 dst_sel:DWORD dst_unused:UNUSED_PAD src0_sel:DWORD src1_sel:WORD_1
	v_mul_f16_sdwa v21, v18, v17 dst_sel:DWORD dst_unused:UNUSED_PAD src0_sel:DWORD src1_sel:WORD_1
	v_fma_f16 v18, v18, v17, -v20
	v_fma_f16 v17, v19, v17, v21
	v_pack_b32_f16 v17, v18, v17
	ds_write_b32 v42, v17
	ds_read2_b32 v[17:18], v31 offset0:16 offset1:24
	ds_read2_b32 v[19:20], v31 offset0:32 offset1:40
	ds_read_b32 v61, v43 offset:32
	ds_read2_b32 v[21:22], v31 offset0:48 offset1:56
	ds_read2_b32 v[24:25], v31 offset0:64 offset1:72
	;; [unrolled: 1-line block ×3, first 2 shown]
	ds_read_b32 v62, v31 offset:384
	s_waitcnt lgkmcnt(4)
	v_lshrrev_b32_e32 v63, 16, v61
	s_waitcnt vmcnt(11)
	v_mul_f16_sdwa v64, v61, v26 dst_sel:DWORD dst_unused:UNUSED_PAD src0_sel:DWORD src1_sel:WORD_1
	v_lshrrev_b32_e32 v65, 16, v17
	s_waitcnt vmcnt(10)
	v_mul_f16_sdwa v66, v17, v50 dst_sel:DWORD dst_unused:UNUSED_PAD src0_sel:DWORD src1_sel:WORD_1
	;; [unrolled: 3-line block ×5, first 2 shown]
	s_waitcnt lgkmcnt(3)
	v_lshrrev_b32_e32 v73, 16, v21
	s_waitcnt vmcnt(6)
	v_mul_f16_sdwa v74, v21, v54 dst_sel:DWORD dst_unused:UNUSED_PAD src0_sel:DWORD src1_sel:WORD_1
	v_lshrrev_b32_e32 v75, 16, v22
	s_waitcnt vmcnt(5)
	v_mul_f16_sdwa v76, v22, v55 dst_sel:DWORD dst_unused:UNUSED_PAD src0_sel:DWORD src1_sel:WORD_1
	s_waitcnt lgkmcnt(2)
	v_lshrrev_b32_e32 v77, 16, v24
	s_waitcnt vmcnt(4)
	v_mul_f16_sdwa v78, v24, v56 dst_sel:DWORD dst_unused:UNUSED_PAD src0_sel:DWORD src1_sel:WORD_1
	v_lshrrev_b32_e32 v79, 16, v25
	v_mul_f16_sdwa v82, v63, v26 dst_sel:DWORD dst_unused:UNUSED_PAD src0_sel:DWORD src1_sel:WORD_1
	v_fma_f16 v63, v63, v26, v64
	v_mul_f16_sdwa v64, v65, v50 dst_sel:DWORD dst_unused:UNUSED_PAD src0_sel:DWORD src1_sel:WORD_1
	v_fma_f16 v65, v65, v50, v66
	v_mul_f16_sdwa v66, v67, v51 dst_sel:DWORD dst_unused:UNUSED_PAD src0_sel:DWORD src1_sel:WORD_1
	s_waitcnt vmcnt(3)
	v_mul_f16_sdwa v80, v25, v57 dst_sel:DWORD dst_unused:UNUSED_PAD src0_sel:DWORD src1_sel:WORD_1
	v_fma_f16 v67, v67, v51, v68
	v_mul_f16_sdwa v68, v69, v52 dst_sel:DWORD dst_unused:UNUSED_PAD src0_sel:DWORD src1_sel:WORD_1
	v_fma_f16 v69, v69, v52, v70
	;; [unrolled: 2-line block ×6, first 2 shown]
	v_mul_f16_sdwa v78, v79, v57 dst_sel:DWORD dst_unused:UNUSED_PAD src0_sel:DWORD src1_sel:WORD_1
	v_fma_f16 v26, v61, v26, -v82
	v_fma_f16 v18, v18, v51, -v66
	s_waitcnt lgkmcnt(1)
	v_lshrrev_b32_e32 v81, 16, v48
	v_fma_f16 v79, v79, v57, v80
	v_fma_f16 v17, v17, v50, -v64
	v_fma_f16 v19, v19, v52, -v68
	;; [unrolled: 1-line block ×7, first 2 shown]
	v_pack_b32_f16 v26, v26, v63
	v_pack_b32_f16 v18, v18, v67
	s_waitcnt vmcnt(2)
	v_mul_f16_sdwa v80, v81, v58 dst_sel:DWORD dst_unused:UNUSED_PAD src0_sel:DWORD src1_sel:WORD_1
	v_pack_b32_f16 v17, v17, v65
	v_pack_b32_f16 v19, v19, v69
	;; [unrolled: 1-line block ×7, first 2 shown]
	ds_write_b32 v43, v26 offset:32
	ds_write2_b32 v31, v17, v18 offset0:16 offset1:24
	ds_write2_b32 v31, v19, v20 offset0:32 offset1:40
	;; [unrolled: 1-line block ×4, first 2 shown]
	v_mul_f16_sdwa v18, v48, v58 dst_sel:DWORD dst_unused:UNUSED_PAD src0_sel:DWORD src1_sel:WORD_1
	v_fma_f16 v17, v48, v58, -v80
	v_fma_f16 v18, v81, v58, v18
	v_pack_b32_f16 v17, v17, v18
	v_lshrrev_b32_e32 v18, 16, v49
	s_waitcnt vmcnt(1)
	v_mul_f16_sdwa v19, v18, v59 dst_sel:DWORD dst_unused:UNUSED_PAD src0_sel:DWORD src1_sel:WORD_1
	v_mul_f16_sdwa v20, v49, v59 dst_sel:DWORD dst_unused:UNUSED_PAD src0_sel:DWORD src1_sel:WORD_1
	v_fma_f16 v19, v49, v59, -v19
	v_fma_f16 v18, v18, v59, v20
	v_pack_b32_f16 v18, v19, v18
	ds_write2_b32 v31, v17, v18 offset0:80 offset1:88
	s_waitcnt lgkmcnt(6)
	v_lshrrev_b32_e32 v17, 16, v62
	s_waitcnt vmcnt(0)
	v_mul_f16_sdwa v18, v17, v60 dst_sel:DWORD dst_unused:UNUSED_PAD src0_sel:DWORD src1_sel:WORD_1
	v_mul_f16_sdwa v19, v62, v60 dst_sel:DWORD dst_unused:UNUSED_PAD src0_sel:DWORD src1_sel:WORD_1
	v_fma_f16 v18, v62, v60, -v18
	v_fma_f16 v17, v17, v60, v19
	v_pack_b32_f16 v17, v18, v17
	ds_write_b32 v31, v17 offset:384
	s_waitcnt lgkmcnt(0)
	; wave barrier
	s_waitcnt lgkmcnt(0)
	ds_read2_b32 v[17:18], v31 offset0:16 offset1:24
	ds_read_b32 v26, v43 offset:32
	ds_read_b32 v50, v31 offset:384
	ds_read_b32 v53, v42
	ds_read2_b32 v[19:20], v31 offset0:32 offset1:40
	ds_read2_b32 v[21:22], v31 offset0:48 offset1:56
	;; [unrolled: 1-line block ×4, first 2 shown]
	s_waitcnt lgkmcnt(4)
	v_pk_add_f16 v51, v53, v26
	v_pk_add_f16 v51, v51, v17
	;; [unrolled: 1-line block ×3, first 2 shown]
	s_waitcnt lgkmcnt(3)
	v_pk_add_f16 v51, v51, v19
	v_pk_add_f16 v51, v51, v20
	s_waitcnt lgkmcnt(2)
	v_pk_add_f16 v51, v51, v21
	v_pk_add_f16 v51, v51, v22
	;; [unrolled: 3-line block ×4, first 2 shown]
	v_pk_add_f16 v55, v50, v26
	v_pk_add_f16 v26, v26, v50 neg_lo:[0,1] neg_hi:[0,1]
	v_pk_add_f16 v54, v51, v50
	v_pk_mul_f16 v50, v26, s17 op_sel_hi:[1,0]
	v_pk_add_f16 v73, v17, v49 neg_lo:[0,1] neg_hi:[0,1]
	v_pk_fma_f16 v56, v55, s9, v50 op_sel:[0,0,1] op_sel_hi:[1,0,0]
	v_pk_fma_f16 v57, v55, s9, v50 op_sel:[0,0,1] op_sel_hi:[1,0,0] neg_lo:[0,0,1] neg_hi:[0,0,1]
	v_pk_add_f16 v72, v49, v17
	v_pk_mul_f16 v17, v73, s13 op_sel_hi:[1,0]
	v_bfi_b32 v50, s0, v56, v57
	v_mul_f16_sdwa v51, v26, s13 dst_sel:DWORD dst_unused:UNUSED_PAD src0_sel:WORD_1 src1_sel:DWORD
	v_pk_fma_f16 v74, v72, s3, v17 op_sel:[0,0,1] op_sel_hi:[1,0,0]
	v_pk_fma_f16 v75, v72, s3, v17 op_sel:[0,0,1] op_sel_hi:[1,0,0] neg_lo:[0,0,1] neg_hi:[0,0,1]
	v_pk_add_f16 v50, v53, v50
	v_fma_f16 v52, v55, s3, v51
	v_bfi_b32 v17, s0, v74, v75
	v_mul_f16_sdwa v49, v73, s10 dst_sel:DWORD dst_unused:UNUSED_PAD src0_sel:WORD_1 src1_sel:DWORD
	v_add_f16_e32 v52, v53, v52
	v_mul_f16_sdwa v58, v55, s3 dst_sel:DWORD dst_unused:UNUSED_PAD src0_sel:WORD_1 src1_sel:DWORD
	v_fma_f16 v51, v55, s3, -v51
	v_pk_add_f16 v17, v17, v50
	v_fma_f16 v50, v72, s11, v49
	v_fma_f16 v59, v26, s8, v58
	v_add_f16_e32 v51, v53, v51
	v_fma_f16 v58, v26, s13, v58
	v_mul_f16_sdwa v60, v26, s22 dst_sel:DWORD dst_unused:UNUSED_PAD src0_sel:WORD_1 src1_sel:DWORD
	v_add_f16_e32 v50, v50, v52
	v_mul_f16_sdwa v52, v72, s11 dst_sel:DWORD dst_unused:UNUSED_PAD src0_sel:WORD_1 src1_sel:DWORD
	v_fma_f16 v49, v72, s11, -v49
	v_add_f16_sdwa v58, v53, v58 dst_sel:DWORD dst_unused:UNUSED_PAD src0_sel:WORD_1 src1_sel:DWORD
	v_fma_f16 v61, v55, s1, v60
	v_fma_f16 v76, v73, s18, v52
	v_add_f16_e32 v49, v49, v51
	v_fma_f16 v51, v73, s10, v52
	v_mul_f16_sdwa v52, v73, s19 dst_sel:DWORD dst_unused:UNUSED_PAD src0_sel:WORD_1 src1_sel:DWORD
	v_add_f16_e32 v61, v53, v61
	v_mul_f16_sdwa v62, v55, s1 dst_sel:DWORD dst_unused:UNUSED_PAD src0_sel:WORD_1 src1_sel:DWORD
	v_fma_f16 v60, v55, s1, -v60
	v_add_f16_e32 v51, v51, v58
	v_fma_f16 v58, v72, s20, v52
	v_add_f16_sdwa v59, v53, v59 dst_sel:DWORD dst_unused:UNUSED_PAD src0_sel:WORD_1 src1_sel:DWORD
	v_fma_f16 v63, v26, s2, v62
	v_add_f16_e32 v60, v53, v60
	v_fma_f16 v62, v26, s22, v62
	v_mul_f16_sdwa v64, v26, s10 dst_sel:DWORD dst_unused:UNUSED_PAD src0_sel:WORD_1 src1_sel:DWORD
	v_add_f16_e32 v58, v58, v61
	v_mul_f16_sdwa v61, v72, s20 dst_sel:DWORD dst_unused:UNUSED_PAD src0_sel:WORD_1 src1_sel:DWORD
	v_fma_f16 v52, v72, s20, -v52
	v_add_f16_sdwa v62, v53, v62 dst_sel:DWORD dst_unused:UNUSED_PAD src0_sel:WORD_1 src1_sel:DWORD
	v_fma_f16 v65, v55, s11, v64
	v_add_f16_e32 v59, v76, v59
	v_fma_f16 v76, v73, s23, v61
	v_add_f16_e32 v52, v52, v60
	v_fma_f16 v60, v73, s19, v61
	v_mul_f16_sdwa v61, v73, s21 dst_sel:DWORD dst_unused:UNUSED_PAD src0_sel:WORD_1 src1_sel:DWORD
	v_add_f16_e32 v65, v53, v65
	v_mul_f16_sdwa v66, v55, s11 dst_sel:DWORD dst_unused:UNUSED_PAD src0_sel:WORD_1 src1_sel:DWORD
	v_fma_f16 v64, v55, s11, -v64
	v_add_f16_e32 v60, v60, v62
	v_fma_f16 v62, v72, s16, v61
	v_add_f16_sdwa v63, v53, v63 dst_sel:DWORD dst_unused:UNUSED_PAD src0_sel:WORD_1 src1_sel:DWORD
	v_fma_f16 v67, v26, s18, v66
	v_add_f16_e32 v64, v53, v64
	v_fma_f16 v66, v26, s10, v66
	v_mul_f16_sdwa v68, v26, s12 dst_sel:DWORD dst_unused:UNUSED_PAD src0_sel:WORD_1 src1_sel:DWORD
	v_add_f16_e32 v62, v62, v65
	v_mul_f16_sdwa v65, v72, s16 dst_sel:DWORD dst_unused:UNUSED_PAD src0_sel:WORD_1 src1_sel:DWORD
	v_fma_f16 v61, v72, s16, -v61
	v_add_f16_sdwa v66, v53, v66 dst_sel:DWORD dst_unused:UNUSED_PAD src0_sel:WORD_1 src1_sel:DWORD
	v_fma_f16 v69, v55, s16, v68
	v_add_f16_e32 v63, v76, v63
	v_fma_f16 v76, v73, s12, v65
	v_add_f16_e32 v61, v61, v64
	v_fma_f16 v64, v73, s21, v65
	v_mul_f16_sdwa v65, v73, s2 dst_sel:DWORD dst_unused:UNUSED_PAD src0_sel:WORD_1 src1_sel:DWORD
	v_add_f16_e32 v69, v53, v69
	v_mul_f16_sdwa v70, v55, s16 dst_sel:DWORD dst_unused:UNUSED_PAD src0_sel:WORD_1 src1_sel:DWORD
	v_fma_f16 v68, v55, s16, -v68
	v_add_f16_e32 v64, v64, v66
	v_fma_f16 v66, v72, s1, v65
	v_fma_f16 v71, v26, s21, v70
	v_add_f16_e32 v68, v53, v68
	v_fma_f16 v70, v26, s12, v70
	v_add_f16_e32 v66, v66, v69
	v_mul_f16_sdwa v69, v72, s1 dst_sel:DWORD dst_unused:UNUSED_PAD src0_sel:WORD_1 src1_sel:DWORD
	v_fma_f16 v65, v72, s1, -v65
	v_add_f16_sdwa v70, v53, v70 dst_sel:DWORD dst_unused:UNUSED_PAD src0_sel:WORD_1 src1_sel:DWORD
	v_add_f16_e32 v65, v65, v68
	v_fma_f16 v68, v73, s2, v69
	v_add_f16_sdwa v67, v53, v67 dst_sel:DWORD dst_unused:UNUSED_PAD src0_sel:WORD_1 src1_sel:DWORD
	v_add_f16_e32 v68, v68, v70
	v_pk_add_f16 v70, v18, v48 neg_lo:[0,1] neg_hi:[0,1]
	v_add_f16_sdwa v71, v53, v71 dst_sel:DWORD dst_unused:UNUSED_PAD src0_sel:WORD_1 src1_sel:DWORD
	v_add_f16_e32 v67, v76, v67
	v_fma_f16 v76, v73, s22, v69
	v_pk_add_f16 v69, v48, v18
	v_pk_mul_f16 v18, v70, s22 op_sel_hi:[1,0]
	v_add_f16_e32 v71, v76, v71
	v_pk_fma_f16 v76, v69, s1, v18 op_sel:[0,0,1] op_sel_hi:[1,0,0]
	v_pk_fma_f16 v77, v69, s1, v18 op_sel:[0,0,1] op_sel_hi:[1,0,0] neg_lo:[0,0,1] neg_hi:[0,0,1]
	v_bfi_b32 v18, s0, v76, v77
	v_pk_add_f16 v17, v18, v17
	v_mul_f16_sdwa v18, v70, s19 dst_sel:DWORD dst_unused:UNUSED_PAD src0_sel:WORD_1 src1_sel:DWORD
	v_fma_f16 v48, v69, s20, v18
	v_add_f16_e32 v48, v48, v50
	v_mul_f16_sdwa v50, v69, s20 dst_sel:DWORD dst_unused:UNUSED_PAD src0_sel:WORD_1 src1_sel:DWORD
	v_fma_f16 v18, v69, s20, -v18
	v_fma_f16 v78, v70, s23, v50
	v_add_f16_e32 v18, v18, v49
	v_fma_f16 v49, v70, s19, v50
	v_mul_f16_sdwa v50, v70, s18 dst_sel:DWORD dst_unused:UNUSED_PAD src0_sel:WORD_1 src1_sel:DWORD
	v_add_f16_e32 v49, v49, v51
	v_fma_f16 v51, v69, s11, v50
	v_add_f16_e32 v51, v51, v58
	v_mul_f16_sdwa v58, v69, s11 dst_sel:DWORD dst_unused:UNUSED_PAD src0_sel:WORD_1 src1_sel:DWORD
	v_fma_f16 v50, v69, s11, -v50
	v_add_f16_e32 v59, v78, v59
	v_fma_f16 v78, v70, s10, v58
	v_add_f16_e32 v50, v50, v52
	v_fma_f16 v52, v70, s18, v58
	v_mul_f16_sdwa v58, v70, s24 dst_sel:DWORD dst_unused:UNUSED_PAD src0_sel:WORD_1 src1_sel:DWORD
	v_add_f16_e32 v52, v52, v60
	v_fma_f16 v60, v69, s9, v58
	v_add_f16_e32 v60, v60, v62
	v_mul_f16_sdwa v62, v69, s9 dst_sel:DWORD dst_unused:UNUSED_PAD src0_sel:WORD_1 src1_sel:DWORD
	v_fma_f16 v58, v69, s9, -v58
	v_add_f16_e32 v63, v78, v63
	;; [unrolled: 10-line block ×3, first 2 shown]
	v_fma_f16 v78, v70, s8, v66
	v_add_f16_e32 v62, v62, v65
	v_fma_f16 v65, v70, s13, v66
	v_pk_add_f16 v66, v25, v19
	v_pk_add_f16 v25, v19, v25 neg_lo:[0,1] neg_hi:[0,1]
	v_pk_mul_f16 v19, v25, s10 op_sel_hi:[1,0]
	v_add_f16_e32 v71, v78, v71
	v_add_f16_e32 v65, v65, v68
	v_pk_fma_f16 v68, v66, s11, v19 op_sel:[0,0,1] op_sel_hi:[1,0,0]
	v_pk_fma_f16 v78, v66, s11, v19 op_sel:[0,0,1] op_sel_hi:[1,0,0] neg_lo:[0,0,1] neg_hi:[0,0,1]
	v_bfi_b32 v19, s0, v68, v78
	v_pk_add_f16 v17, v19, v17
	v_mul_f16_sdwa v19, v25, s21 dst_sel:DWORD dst_unused:UNUSED_PAD src0_sel:WORD_1 src1_sel:DWORD
	v_fma_f16 v79, v66, s16, v19
	v_add_f16_e32 v48, v79, v48
	v_mul_f16_sdwa v79, v66, s16 dst_sel:DWORD dst_unused:UNUSED_PAD src0_sel:WORD_1 src1_sel:DWORD
	v_fma_f16 v19, v66, s16, -v19
	v_add_f16_e32 v18, v19, v18
	v_fma_f16 v19, v25, s21, v79
	v_add_f16_e32 v19, v19, v49
	v_mul_f16_sdwa v49, v25, s24 dst_sel:DWORD dst_unused:UNUSED_PAD src0_sel:WORD_1 src1_sel:DWORD
	v_fma_f16 v80, v25, s12, v79
	v_fma_f16 v79, v66, s9, v49
	v_add_f16_e32 v51, v79, v51
	v_mul_f16_sdwa v79, v66, s9 dst_sel:DWORD dst_unused:UNUSED_PAD src0_sel:WORD_1 src1_sel:DWORD
	v_fma_f16 v49, v66, s9, -v49
	v_add_f16_e32 v49, v49, v50
	v_fma_f16 v50, v25, s24, v79
	v_add_f16_e32 v50, v50, v52
	v_mul_f16_sdwa v52, v25, s22 dst_sel:DWORD dst_unused:UNUSED_PAD src0_sel:WORD_1 src1_sel:DWORD
	v_add_f16_e32 v59, v80, v59
	v_fma_f16 v80, v25, s17, v79
	v_fma_f16 v79, v66, s1, v52
	v_add_f16_e32 v60, v79, v60
	v_mul_f16_sdwa v79, v66, s1 dst_sel:DWORD dst_unused:UNUSED_PAD src0_sel:WORD_1 src1_sel:DWORD
	v_fma_f16 v52, v66, s1, -v52
	v_add_f16_e32 v52, v52, v58
	v_fma_f16 v58, v25, s22, v79
	v_add_f16_e32 v58, v58, v61
	v_mul_f16_sdwa v61, v25, s23 dst_sel:DWORD dst_unused:UNUSED_PAD src0_sel:WORD_1 src1_sel:DWORD
	v_add_f16_e32 v63, v80, v63
	v_fma_f16 v80, v25, s2, v79
	v_fma_f16 v79, v66, s20, v61
	v_add_f16_e32 v64, v79, v64
	v_mul_f16_sdwa v79, v66, s20 dst_sel:DWORD dst_unused:UNUSED_PAD src0_sel:WORD_1 src1_sel:DWORD
	v_fma_f16 v61, v66, s20, -v61
	v_add_f16_e32 v61, v61, v62
	v_fma_f16 v62, v25, s23, v79
	v_add_f16_e32 v62, v62, v65
	v_pk_add_f16 v65, v24, v20
	v_pk_add_f16 v20, v20, v24 neg_lo:[0,1] neg_hi:[0,1]
	v_pk_mul_f16 v24, v20, s12 op_sel_hi:[1,0]
	v_add_f16_e32 v67, v80, v67
	v_fma_f16 v80, v25, s19, v79
	v_pk_fma_f16 v79, v65, s16, v24 op_sel:[0,0,1] op_sel_hi:[1,0,0]
	v_pk_fma_f16 v24, v65, s16, v24 op_sel:[0,0,1] op_sel_hi:[1,0,0] neg_lo:[0,0,1] neg_hi:[0,0,1]
	v_add_f16_e32 v71, v80, v71
	v_bfi_b32 v80, s0, v79, v24
	v_pk_add_f16 v17, v80, v17
	v_mul_f16_sdwa v80, v20, s2 dst_sel:DWORD dst_unused:UNUSED_PAD src0_sel:WORD_1 src1_sel:DWORD
	v_fma_f16 v81, v65, s1, v80
	v_add_f16_e32 v48, v81, v48
	v_mul_f16_sdwa v81, v65, s1 dst_sel:DWORD dst_unused:UNUSED_PAD src0_sel:WORD_1 src1_sel:DWORD
	v_fma_f16 v80, v65, s1, -v80
	v_add_f16_e32 v18, v80, v18
	v_fma_f16 v80, v20, s2, v81
	v_add_f16_e32 v80, v80, v19
	v_mul_f16_sdwa v19, v20, s13 dst_sel:DWORD dst_unused:UNUSED_PAD src0_sel:WORD_1 src1_sel:DWORD
	v_fma_f16 v82, v20, s22, v81
	v_fma_f16 v81, v65, s3, v19
	v_add_f16_e32 v81, v81, v51
	v_mul_f16_sdwa v51, v65, s3 dst_sel:DWORD dst_unused:UNUSED_PAD src0_sel:WORD_1 src1_sel:DWORD
	v_fma_f16 v19, v65, s3, -v19
	v_add_f16_e32 v49, v19, v49
	v_fma_f16 v19, v20, s13, v51
	v_add_f16_e32 v50, v19, v50
	v_mul_f16_sdwa v19, v20, s23 dst_sel:DWORD dst_unused:UNUSED_PAD src0_sel:WORD_1 src1_sel:DWORD
	v_add_f16_e32 v59, v82, v59
	v_fma_f16 v82, v20, s8, v51
	v_fma_f16 v51, v65, s20, v19
	v_add_f16_e32 v60, v51, v60
	v_mul_f16_sdwa v51, v65, s20 dst_sel:DWORD dst_unused:UNUSED_PAD src0_sel:WORD_1 src1_sel:DWORD
	v_fma_f16 v19, v65, s20, -v19
	v_add_f16_e32 v52, v19, v52
	v_fma_f16 v19, v20, s23, v51
	v_add_f16_e32 v58, v19, v58
	v_mul_f16_sdwa v19, v20, s24 dst_sel:DWORD dst_unused:UNUSED_PAD src0_sel:WORD_1 src1_sel:DWORD
	v_add_f16_e32 v63, v82, v63
	v_fma_f16 v82, v20, s19, v51
	v_fma_f16 v51, v65, s9, v19
	v_add_f16_e32 v64, v51, v64
	v_mul_f16_sdwa v51, v65, s9 dst_sel:DWORD dst_unused:UNUSED_PAD src0_sel:WORD_1 src1_sel:DWORD
	v_add_f16_e32 v67, v82, v67
	v_fma_f16 v82, v20, s17, v51
	v_fma_f16 v19, v65, s9, -v19
	v_add_f16_e32 v71, v82, v71
	v_add_f16_e32 v61, v19, v61
	v_fma_f16 v19, v20, s24, v51
	v_pk_add_f16 v82, v22, v21
	v_pk_add_f16 v21, v21, v22 neg_lo:[0,1] neg_hi:[0,1]
	v_add_f16_e32 v62, v19, v62
	v_pk_mul_f16 v19, v21, s19 op_sel_hi:[1,0]
	v_pk_fma_f16 v22, v82, s20, v19 op_sel:[0,0,1] op_sel_hi:[1,0,0]
	v_pk_fma_f16 v83, v82, s20, v19 op_sel:[0,0,1] op_sel_hi:[1,0,0] neg_lo:[0,0,1] neg_hi:[0,0,1]
	v_bfi_b32 v19, s0, v22, v83
	v_pk_add_f16 v84, v19, v17
	v_mul_f16_sdwa v17, v21, s24 dst_sel:DWORD dst_unused:UNUSED_PAD src0_sel:WORD_1 src1_sel:DWORD
	v_fma_f16 v19, v82, s9, v17
	v_add_f16_e32 v85, v19, v48
	v_mul_f16_sdwa v48, v82, s9 dst_sel:DWORD dst_unused:UNUSED_PAD src0_sel:WORD_1 src1_sel:DWORD
	v_fma_f16 v19, v21, s17, v48
	v_fma_f16 v17, v82, s9, -v17
	v_add_f16_e32 v59, v19, v59
	v_add_f16_e32 v19, v17, v18
	v_fma_f16 v17, v21, s24, v48
	v_add_f16_e32 v51, v17, v80
	v_mul_f16_sdwa v17, v21, s12 dst_sel:DWORD dst_unused:UNUSED_PAD src0_sel:WORD_1 src1_sel:DWORD
	v_fma_f16 v18, v82, s16, v17
	v_mul_f16_sdwa v48, v82, s16 dst_sel:DWORD dst_unused:UNUSED_PAD src0_sel:WORD_1 src1_sel:DWORD
	v_add_f16_e32 v80, v18, v81
	v_fma_f16 v18, v21, s21, v48
	v_fma_f16 v17, v82, s16, -v17
	v_add_f16_e32 v63, v18, v63
	v_add_f16_e32 v18, v17, v49
	v_fma_f16 v17, v21, s12, v48
	v_add_f16_e32 v49, v17, v50
	v_mul_f16_sdwa v17, v21, s8 dst_sel:DWORD dst_unused:UNUSED_PAD src0_sel:WORD_1 src1_sel:DWORD
	v_fma_f16 v48, v82, s3, v17
	v_add_f16_e32 v60, v48, v60
	v_mul_f16_sdwa v48, v82, s3 dst_sel:DWORD dst_unused:UNUSED_PAD src0_sel:WORD_1 src1_sel:DWORD
	v_fma_f16 v50, v21, s13, v48
	v_fma_f16 v17, v82, s3, -v17
	v_fma_f16 v48, v21, s8, v48
	v_add_f16_e32 v17, v17, v52
	v_add_f16_e32 v52, v48, v58
	v_mul_f16_sdwa v48, v21, s10 dst_sel:DWORD dst_unused:UNUSED_PAD src0_sel:WORD_1 src1_sel:DWORD
	v_add_f16_e32 v67, v50, v67
	v_fma_f16 v50, v82, s11, v48
	v_add_f16_e32 v58, v50, v64
	v_mul_f16_sdwa v50, v82, s11 dst_sel:DWORD dst_unused:UNUSED_PAD src0_sel:WORD_1 src1_sel:DWORD
	v_fma_f16 v64, v21, s18, v50
	v_add_f16_e32 v64, v64, v71
	s_waitcnt lgkmcnt(0)
	; wave barrier
	ds_write2_b32 v23, v54, v84 offset1:1
	v_pack_b32_f16 v54, v80, v63
	v_pack_b32_f16 v59, v85, v59
	ds_write2_b32 v23, v59, v54 offset0:2 offset1:3
	v_pack_b32_f16 v54, v58, v64
	v_pack_b32_f16 v58, v60, v67
	ds_write2_b32 v23, v58, v54 offset0:4 offset1:5
	v_pk_mul_f16 v54, v55, s20 op_sel_hi:[1,0]
	v_pk_fma_f16 v55, v26, s19, v54 op_sel:[0,0,1] op_sel_hi:[1,0,0]
	v_pk_fma_f16 v26, v26, s19, v54 op_sel:[0,0,1] op_sel_hi:[1,0,0] neg_lo:[1,0,0] neg_hi:[1,0,0]
	v_alignbit_b32 v54, s0, v53, 16
	v_alignbit_b32 v58, s0, v55, 16
	v_pk_add_f16 v54, v54, v55
	v_pk_mul_f16 v55, v72, s9 op_sel_hi:[1,0]
	v_pk_add_f16 v26, v53, v26 op_sel:[1,0] op_sel_hi:[0,1]
	v_pk_fma_f16 v59, v73, s24, v55 op_sel:[0,0,1] op_sel_hi:[1,0,0]
	v_pk_fma_f16 v55, v73, s24, v55 op_sel:[0,0,1] op_sel_hi:[1,0,0] neg_lo:[1,0,0] neg_hi:[1,0,0]
	v_pk_add_f16 v26, v55, v26
	v_pk_mul_f16 v55, v69, s16 op_sel_hi:[1,0]
	v_alignbit_b32 v60, s0, v59, 16
	v_pk_add_f16 v54, v59, v54
	v_pk_fma_f16 v59, v70, s12, v55 op_sel:[0,0,1] op_sel_hi:[1,0,0]
	v_pk_fma_f16 v55, v70, s12, v55 op_sel:[0,0,1] op_sel_hi:[1,0,0] neg_lo:[1,0,0] neg_hi:[1,0,0]
	v_pk_add_f16 v58, v53, v58
	v_pk_add_f16 v26, v55, v26
	v_pk_mul_f16 v55, v66, s3 op_sel_hi:[1,0]
	v_pk_add_f16 v58, v60, v58
	v_alignbit_b32 v60, s0, v59, 16
	v_pk_add_f16 v54, v59, v54
	v_pk_fma_f16 v59, v25, s8, v55 op_sel:[0,0,1] op_sel_hi:[1,0,0]
	v_pk_fma_f16 v25, v25, s8, v55 op_sel:[0,0,1] op_sel_hi:[1,0,0] neg_lo:[1,0,0] neg_hi:[1,0,0]
	v_pk_add_f16 v25, v25, v26
	v_pk_add_f16 v26, v59, v54
	v_pk_mul_f16 v54, v65, s11 op_sel_hi:[1,0]
	v_pk_fma_f16 v55, v20, s10, v54 op_sel:[0,0,1] op_sel_hi:[1,0,0]
	v_pk_fma_f16 v20, v20, s10, v54 op_sel:[0,0,1] op_sel_hi:[1,0,0] neg_lo:[1,0,0] neg_hi:[1,0,0]
	v_pk_add_f16 v58, v60, v58
	v_alignbit_b32 v60, s0, v59, 16
	v_pk_add_f16 v20, v20, v25
	v_pk_add_f16 v25, v55, v26
	v_pk_mul_f16 v26, v82, s1 op_sel_hi:[1,0]
	v_pk_add_f16 v58, v60, v58
	v_alignbit_b32 v59, s0, v55, 16
	v_pk_fma_f16 v54, v21, s2, v26 op_sel:[0,0,1] op_sel_hi:[1,0,0]
	v_fma_f16 v50, v21, s10, v50
	v_pk_add_f16 v58, v59, v58
	v_alignbit_b32 v55, s0, v54, 16
	v_pk_fma_f16 v21, v21, s2, v26 op_sel:[0,0,1] op_sel_hi:[1,0,0] neg_lo:[1,0,0] neg_hi:[1,0,0]
	v_fma_f16 v48, v82, s11, -v48
	v_pk_add_f16 v55, v55, v58
	v_pk_add_f16 v20, v21, v20
	;; [unrolled: 1-line block ×3, first 2 shown]
	v_add_f16_e32 v48, v48, v61
	v_add_f16_e32 v50, v50, v62
	v_alignbit_b32 v21, v21, v20, 16
	v_pack_b32_f16 v20, v55, v20
	ds_write2_b32 v23, v20, v21 offset0:6 offset1:7
	v_pack_b32_f16 v20, v17, v52
	v_pack_b32_f16 v21, v48, v50
	ds_write2_b32 v23, v21, v20 offset0:8 offset1:9
	v_pack_b32_f16 v20, v19, v51
	v_pack_b32_f16 v21, v18, v49
	ds_write2_b32 v23, v21, v20 offset0:10 offset1:11
	v_bfi_b32 v20, s0, v57, v56
	v_pk_add_f16 v20, v53, v20
	v_bfi_b32 v21, s0, v75, v74
	v_pk_add_f16 v20, v21, v20
	;; [unrolled: 2-line block ×6, first 2 shown]
	ds_write_b32 v23, v20 offset:48
	s_waitcnt lgkmcnt(0)
	; wave barrier
	s_waitcnt lgkmcnt(0)
	ds_read2_b32 v[25:26], v31 offset0:13 offset1:26
	ds_read2_b32 v[23:24], v31 offset0:39 offset1:52
	;; [unrolled: 1-line block ×3, first 2 shown]
	ds_read_b32 v54, v42
	ds_read_b32 v55, v31 offset:364
	v_lshrrev_b32_e32 v53, 16, v20
	s_and_saveexec_b64 s[0:1], vcc
	s_cbranch_execz .LBB0_7
; %bb.6:
	ds_read_b32 v48, v43 offset:32
	ds_read2_b32 v[17:18], v31 offset0:21 offset1:34
	ds_read2_b32 v[19:20], v31 offset0:47 offset1:60
	;; [unrolled: 1-line block ×3, first 2 shown]
	ds_read_b32 v46, v31 offset:396
	s_waitcnt lgkmcnt(4)
	v_lshrrev_b32_e32 v50, 16, v48
	s_waitcnt lgkmcnt(3)
	v_lshrrev_b32_e32 v52, 16, v17
	v_lshrrev_b32_e32 v49, 16, v18
	s_waitcnt lgkmcnt(2)
	v_lshrrev_b32_e32 v51, 16, v19
	;; [unrolled: 3-line block ×4, first 2 shown]
.LBB0_7:
	s_or_b64 exec, exec, s[0:1]
	s_waitcnt lgkmcnt(4)
	v_lshrrev_b32_e32 v57, 16, v25
	v_mul_f16_sdwa v64, v4, v57 dst_sel:DWORD dst_unused:UNUSED_PAD src0_sel:WORD_1 src1_sel:DWORD
	v_lshrrev_b32_e32 v58, 16, v26
	v_fma_f16 v64, v4, v25, v64
	v_mul_f16_sdwa v25, v4, v25 dst_sel:DWORD dst_unused:UNUSED_PAD src0_sel:WORD_1 src1_sel:DWORD
	v_fma_f16 v4, v4, v57, -v25
	v_mul_f16_sdwa v25, v5, v58 dst_sel:DWORD dst_unused:UNUSED_PAD src0_sel:WORD_1 src1_sel:DWORD
	s_waitcnt lgkmcnt(3)
	v_lshrrev_b32_e32 v59, 16, v23
	v_fma_f16 v25, v5, v26, v25
	v_mul_f16_sdwa v26, v5, v26 dst_sel:DWORD dst_unused:UNUSED_PAD src0_sel:WORD_1 src1_sel:DWORD
	v_fma_f16 v5, v5, v58, -v26
	v_mul_f16_sdwa v26, v6, v59 dst_sel:DWORD dst_unused:UNUSED_PAD src0_sel:WORD_1 src1_sel:DWORD
	v_lshrrev_b32_e32 v60, 16, v24
	v_fma_f16 v26, v6, v23, v26
	v_mul_f16_sdwa v23, v6, v23 dst_sel:DWORD dst_unused:UNUSED_PAD src0_sel:WORD_1 src1_sel:DWORD
	v_fma_f16 v6, v6, v59, -v23
	v_mul_f16_sdwa v23, v7, v60 dst_sel:DWORD dst_unused:UNUSED_PAD src0_sel:WORD_1 src1_sel:DWORD
	s_waitcnt lgkmcnt(2)
	v_lshrrev_b32_e32 v61, 16, v21
	v_fma_f16 v23, v7, v24, v23
	v_mul_f16_sdwa v24, v7, v24 dst_sel:DWORD dst_unused:UNUSED_PAD src0_sel:WORD_1 src1_sel:DWORD
	v_fma_f16 v7, v7, v60, -v24
	;; [unrolled: 11-line block ×3, first 2 shown]
	v_mul_f16_sdwa v22, v13, v63 dst_sel:DWORD dst_unused:UNUSED_PAD src0_sel:WORD_1 src1_sel:DWORD
	v_fma_f16 v22, v13, v55, v22
	v_mul_f16_sdwa v55, v13, v55 dst_sel:DWORD dst_unused:UNUSED_PAD src0_sel:WORD_1 src1_sel:DWORD
	v_lshrrev_b32_e32 v56, 16, v54
	v_fma_f16 v13, v13, v63, -v55
	v_sub_f16_e32 v23, v54, v23
	v_sub_f16_e32 v7, v56, v7
	;; [unrolled: 1-line block ×8, first 2 shown]
	v_fma_f16 v54, v54, 2.0, -v23
	v_fma_f16 v55, v56, 2.0, -v7
	;; [unrolled: 1-line block ×8, first 2 shown]
	v_add_f16_e32 v12, v23, v12
	v_sub_f16_e32 v21, v7, v21
	v_add_f16_e32 v13, v24, v13
	v_sub_f16_e32 v22, v11, v22
	v_sub_f16_e32 v25, v54, v25
	;; [unrolled: 1-line block ×3, first 2 shown]
	v_fma_f16 v23, v23, 2.0, -v12
	v_fma_f16 v7, v7, 2.0, -v21
	v_sub_f16_e32 v26, v56, v26
	v_sub_f16_e32 v6, v4, v6
	v_fma_f16 v24, v24, 2.0, -v13
	v_fma_f16 v11, v11, 2.0, -v22
	s_mov_b32 s2, 0xb9a8
	v_fma_f16 v54, v54, 2.0, -v25
	v_fma_f16 v55, v55, 2.0, -v5
	;; [unrolled: 1-line block ×4, first 2 shown]
	v_fma_f16 v57, v24, s2, v23
	v_fma_f16 v58, v11, s2, v7
	s_movk_i32 s3, 0x39a8
	v_sub_f16_e32 v56, v54, v56
	v_sub_f16_e32 v4, v55, v4
	v_fma_f16 v11, v11, s3, v57
	v_fma_f16 v24, v24, s2, v58
	v_add_f16_e32 v6, v25, v6
	v_sub_f16_e32 v26, v5, v26
	v_fma_f16 v57, v13, s3, v12
	v_fma_f16 v58, v22, s3, v21
	v_fma_f16 v54, v54, 2.0, -v56
	v_fma_f16 v55, v55, 2.0, -v4
	;; [unrolled: 1-line block ×6, first 2 shown]
	v_fma_f16 v22, v22, s3, v57
	v_fma_f16 v13, v13, s2, v58
	v_fma_f16 v12, v12, 2.0, -v22
	v_fma_f16 v21, v21, 2.0, -v13
	v_pack_b32_f16 v54, v54, v55
	v_pack_b32_f16 v7, v23, v7
	;; [unrolled: 1-line block ×3, first 2 shown]
	ds_write_b32 v42, v54
	ds_write2_b32 v31, v7, v5 offset0:13 offset1:26
	v_pack_b32_f16 v5, v12, v21
	v_pack_b32_f16 v4, v56, v4
	ds_write2_b32 v31, v5, v4 offset0:39 offset1:52
	v_pack_b32_f16 v4, v11, v24
	v_pack_b32_f16 v5, v6, v26
	ds_write2_b32 v31, v4, v5 offset0:65 offset1:78
	v_pack_b32_f16 v4, v22, v13
	ds_write_b32 v31, v4 offset:364
	s_and_saveexec_b64 s[0:1], vcc
	s_cbranch_execz .LBB0_9
; %bb.8:
	v_mul_f16_sdwa v13, v2, v51 dst_sel:DWORD dst_unused:UNUSED_PAD src0_sel:WORD_1 src1_sel:DWORD
	v_mul_f16_sdwa v6, v3, v53 dst_sel:DWORD dst_unused:UNUSED_PAD src0_sel:WORD_1 src1_sel:DWORD
	v_fma_f16 v13, v2, v19, v13
	v_mul_f16_sdwa v19, v2, v19 dst_sel:DWORD dst_unused:UNUSED_PAD src0_sel:WORD_1 src1_sel:DWORD
	v_fma_f16 v6, v3, v20, v6
	v_mul_f16_sdwa v21, v10, v47 dst_sel:DWORD dst_unused:UNUSED_PAD src0_sel:WORD_1 src1_sel:DWORD
	v_fma_f16 v2, v2, v51, -v19
	v_mul_f16_sdwa v19, v10, v46 dst_sel:DWORD dst_unused:UNUSED_PAD src0_sel:WORD_1 src1_sel:DWORD
	v_mul_f16_sdwa v20, v3, v20 dst_sel:DWORD dst_unused:UNUSED_PAD src0_sel:WORD_1 src1_sel:DWORD
	;; [unrolled: 1-line block ×4, first 2 shown]
	v_fma_f16 v21, v10, v46, v21
	v_fma_f16 v10, v10, v47, -v19
	v_mul_f16_sdwa v19, v0, v52 dst_sel:DWORD dst_unused:UNUSED_PAD src0_sel:WORD_1 src1_sel:DWORD
	v_fma_f16 v3, v3, v53, -v20
	v_mul_f16_sdwa v20, v1, v49 dst_sel:DWORD dst_unused:UNUSED_PAD src0_sel:WORD_1 src1_sel:DWORD
	;; [unrolled: 2-line block ×4, first 2 shown]
	v_fma_f16 v0, v0, v17, v19
	v_mul_f16_sdwa v17, v8, v45 dst_sel:DWORD dst_unused:UNUSED_PAD src0_sel:WORD_1 src1_sel:DWORD
	v_fma_f16 v1, v1, v18, v20
	v_mul_f16_sdwa v18, v9, v44 dst_sel:DWORD dst_unused:UNUSED_PAD src0_sel:WORD_1 src1_sel:DWORD
	v_fma_f16 v5, v9, v44, -v5
	v_fma_f16 v12, v8, v45, -v12
	v_fma_f16 v8, v8, v15, v17
	v_fma_f16 v9, v9, v16, v18
	v_sub_f16_e32 v5, v4, v5
	v_sub_f16_e32 v6, v48, v6
	;; [unrolled: 1-line block ×8, first 2 shown]
	v_add_f16_e32 v7, v5, v6
	v_add_f16_e32 v15, v10, v8
	v_sub_f16_e32 v16, v3, v9
	v_fma_f16 v23, v48, 2.0, -v6
	v_fma_f16 v1, v1, 2.0, -v9
	;; [unrolled: 1-line block ×8, first 2 shown]
	v_sub_f16_e32 v22, v12, v21
	v_fma_f16 v17, v15, s3, v7
	v_sub_f16_e32 v1, v23, v1
	v_sub_f16_e32 v2, v9, v2
	v_sub_f16_e32 v4, v24, v4
	v_sub_f16_e32 v5, v0, v5
	v_fma_f16 v17, v22, s3, v17
	v_add_f16_e32 v10, v1, v2
	v_sub_f16_e32 v13, v4, v5
	v_fma_f16 v6, v6, 2.0, -v7
	v_fma_f16 v8, v8, 2.0, -v15
	;; [unrolled: 1-line block ×6, first 2 shown]
	v_fma_f16 v12, v8, s2, v6
	v_fma_f16 v3, v3, 2.0, -v16
	v_fma_f16 v1, v23, 2.0, -v1
	;; [unrolled: 1-line block ×5, first 2 shown]
	v_fma_f16 v12, v7, s3, v12
	v_fma_f16 v7, v7, s2, v3
	v_sub_f16_e32 v0, v1, v0
	v_sub_f16_e32 v2, v4, v2
	v_fma_f16 v18, v22, s3, v16
	v_fma_f16 v7, v8, s2, v7
	v_fma_f16 v1, v1, 2.0, -v0
	v_fma_f16 v4, v4, 2.0, -v2
	v_fma_f16 v18, v15, s2, v18
	v_fma_f16 v6, v6, 2.0, -v12
	v_fma_f16 v3, v3, 2.0, -v7
	v_pack_b32_f16 v1, v1, v4
	v_fma_f16 v20, v16, 2.0, -v18
	ds_write_b32 v43, v1 offset:32
	v_pack_b32_f16 v1, v6, v3
	v_pack_b32_f16 v3, v11, v21
	ds_write2_b32 v31, v1, v3 offset0:21 offset1:34
	v_pack_b32_f16 v1, v19, v20
	v_pack_b32_f16 v0, v0, v2
	ds_write2_b32 v31, v1, v0 offset0:47 offset1:60
	;; [unrolled: 3-line block ×3, first 2 shown]
	v_pack_b32_f16 v0, v17, v18
	ds_write_b32 v31, v0 offset:396
.LBB0_9:
	s_or_b64 exec, exec, s[0:1]
	s_waitcnt lgkmcnt(0)
	; wave barrier
	s_waitcnt lgkmcnt(0)
	ds_read_b32 v0, v42
	ds_read_b32 v1, v31 offset:384
	s_mov_b32 s2, 0x13b13b14
	s_mov_b32 s3, 0x3f83b13b
	v_mad_u64_u32 v[4:5], s[0:1], s6, v14, 0
	s_waitcnt lgkmcnt(1)
	v_lshrrev_b32_e32 v7, 16, v0
	v_mul_f16_sdwa v2, v41, v7 dst_sel:DWORD dst_unused:UNUSED_PAD src0_sel:WORD_1 src1_sel:DWORD
	v_fma_f16 v2, v41, v0, v2
	v_cvt_f32_f16_e32 v2, v2
	v_mad_u64_u32 v[5:6], s[0:1], s7, v14, v[5:6]
	s_movk_i32 s7, 0x1ff
	v_cvt_f64_f32_e32 v[2:3], v2
	s_movk_i32 s6, 0xffe
	v_mul_f16_sdwa v0, v41, v0 dst_sel:DWORD dst_unused:UNUSED_PAD src0_sel:WORD_1 src1_sel:DWORD
	v_fma_f16 v0, v41, v7, -v0
	v_mul_f64 v[2:3], v[2:3], s[2:3]
	v_cvt_f32_f16_e32 v7, v0
	v_mov_b32_e32 v0, 0x7c00
	s_movk_i32 s8, 0x40f
	s_mov_b32 s9, 0x8000
	ds_read_b32 v8, v43 offset:32
	v_and_or_b32 v2, v3, s7, v2
	v_cmp_ne_u32_e32 vcc, 0, v2
	v_lshrrev_b32_e32 v6, 8, v3
	v_bfe_u32 v9, v3, 20, 11
	v_cndmask_b32_e64 v2, 0, 1, vcc
	v_and_or_b32 v2, v6, s6, v2
	v_sub_u32_e32 v10, 0x3f1, v9
	v_or_b32_e32 v6, 0x1000, v2
	v_med3_i32 v10, v10, 0, 13
	v_lshrrev_b32_e32 v11, v10, v6
	v_lshlrev_b32_e32 v10, v10, v11
	v_cmp_ne_u32_e32 vcc, v10, v6
	v_cndmask_b32_e64 v6, 0, 1, vcc
	v_add_u32_e32 v9, 0xfffffc10, v9
	v_or_b32_e32 v6, v11, v6
	v_lshl_or_b32 v10, v9, 12, v2
	v_cmp_gt_i32_e32 vcc, 1, v9
	v_cndmask_b32_e32 v6, v10, v6, vcc
	v_and_b32_e32 v10, 7, v6
	v_cmp_lt_i32_e32 vcc, 5, v10
	v_cmp_eq_u32_e64 s[0:1], 3, v10
	v_lshrrev_b32_e32 v6, 2, v6
	s_or_b64 vcc, s[0:1], vcc
	v_addc_co_u32_e32 v10, vcc, 0, v6, vcc
	v_cvt_f64_f32_e32 v[6:7], v7
	v_cmp_gt_i32_e32 vcc, 31, v9
	v_cndmask_b32_e32 v10, v0, v10, vcc
	v_cmp_ne_u32_e32 vcc, 0, v2
	v_mul_f64 v[6:7], v[6:7], s[2:3]
	v_cndmask_b32_e64 v2, 0, 1, vcc
	v_lshl_or_b32 v2, v2, 9, v0
	v_cmp_eq_u32_e32 vcc, s8, v9
	v_cndmask_b32_e32 v2, v10, v2, vcc
	v_lshrrev_b32_e32 v3, 16, v3
	v_and_or_b32 v9, v3, s9, v2
	s_waitcnt lgkmcnt(0)
	v_lshrrev_b32_e32 v12, 16, v8
	v_and_or_b32 v2, v7, s7, v6
	v_cmp_ne_u32_e32 vcc, 0, v2
	v_cndmask_b32_e64 v2, 0, 1, vcc
	v_lshrrev_b32_e32 v3, 8, v7
	v_bfe_u32 v6, v7, 20, 11
	v_and_or_b32 v2, v3, s6, v2
	v_sub_u32_e32 v10, 0x3f1, v6
	v_or_b32_e32 v3, 0x1000, v2
	v_med3_i32 v10, v10, 0, 13
	v_lshrrev_b32_e32 v11, v10, v3
	v_lshlrev_b32_e32 v10, v10, v11
	v_cmp_ne_u32_e32 vcc, v10, v3
	v_cndmask_b32_e64 v3, 0, 1, vcc
	v_add_u32_e32 v6, 0xfffffc10, v6
	v_or_b32_e32 v3, v11, v3
	v_lshl_or_b32 v10, v6, 12, v2
	v_cmp_gt_i32_e32 vcc, 1, v6
	v_cndmask_b32_e32 v3, v10, v3, vcc
	v_and_b32_e32 v10, 7, v3
	v_cmp_lt_i32_e32 vcc, 5, v10
	v_cmp_eq_u32_e64 s[0:1], 3, v10
	v_lshrrev_b32_e32 v3, 2, v3
	s_or_b64 vcc, s[0:1], vcc
	v_addc_co_u32_e32 v3, vcc, 0, v3, vcc
	v_cmp_gt_i32_e32 vcc, 31, v6
	v_cndmask_b32_e32 v10, v0, v3, vcc
	v_cmp_ne_u32_e32 vcc, 0, v2
	v_cndmask_b32_e64 v2, 0, 1, vcc
	v_lshl_or_b32 v11, v2, 9, v0
	v_mad_u64_u32 v[2:3], s[0:1], s4, v39, 0
	v_cmp_eq_u32_e32 vcc, s8, v6
	v_cndmask_b32_e32 v10, v10, v11, vcc
	v_lshrrev_b32_e32 v11, 16, v7
	v_mad_u64_u32 v[6:7], s[0:1], s5, v39, v[3:4]
	v_mul_f16_sdwa v3, v40, v12 dst_sel:DWORD dst_unused:UNUSED_PAD src0_sel:WORD_1 src1_sel:DWORD
	v_fma_f16 v3, v40, v8, v3
	v_cvt_f32_f16_e32 v7, v3
	v_mov_b32_e32 v3, v6
	v_lshlrev_b64 v[4:5], 2, v[4:5]
	v_and_or_b32 v10, v11, s9, v10
	v_cvt_f64_f32_e32 v[6:7], v7
	v_and_b32_e32 v9, 0xffff, v9
	v_lshl_or_b32 v9, v10, 16, v9
	v_mov_b32_e32 v10, s15
	v_mul_f64 v[6:7], v[6:7], s[2:3]
	v_add_co_u32_e32 v4, vcc, s14, v4
	v_lshlrev_b64 v[2:3], 2, v[2:3]
	v_addc_co_u32_e32 v5, vcc, v10, v5, vcc
	v_add_co_u32_e32 v4, vcc, v4, v2
	v_addc_co_u32_e32 v5, vcc, v5, v3, vcc
	v_and_or_b32 v2, v7, s7, v6
	v_cmp_ne_u32_e32 vcc, 0, v2
	v_cndmask_b32_e64 v2, 0, 1, vcc
	v_lshrrev_b32_e32 v3, 8, v7
	v_and_or_b32 v6, v3, s6, v2
	v_bfe_u32 v3, v7, 20, 11
	global_store_dword v[4:5], v9, off
	v_sub_u32_e32 v9, 0x3f1, v3
	v_or_b32_e32 v2, 0x1000, v6
	v_med3_i32 v9, v9, 0, 13
	v_lshrrev_b32_e32 v10, v9, v2
	v_lshlrev_b32_e32 v9, v9, v10
	v_mul_f16_sdwa v8, v40, v8 dst_sel:DWORD dst_unused:UNUSED_PAD src0_sel:WORD_1 src1_sel:DWORD
	v_cmp_ne_u32_e32 vcc, v9, v2
	v_fma_f16 v8, v40, v12, -v8
	v_cndmask_b32_e64 v2, 0, 1, vcc
	v_add_u32_e32 v9, 0xfffffc10, v3
	v_cvt_f32_f16_e32 v8, v8
	v_or_b32_e32 v2, v10, v2
	v_lshl_or_b32 v3, v9, 12, v6
	v_cmp_gt_i32_e32 vcc, 1, v9
	v_cndmask_b32_e32 v2, v3, v2, vcc
	v_and_b32_e32 v3, 7, v2
	v_cmp_lt_i32_e32 vcc, 5, v3
	v_cmp_eq_u32_e64 s[0:1], 3, v3
	v_lshrrev_b32_e32 v10, 2, v2
	v_cvt_f64_f32_e32 v[2:3], v8
	s_or_b64 vcc, s[0:1], vcc
	v_addc_co_u32_e32 v8, vcc, 0, v10, vcc
	v_mul_f64 v[2:3], v[2:3], s[2:3]
	v_cmp_gt_i32_e32 vcc, 31, v9
	v_cndmask_b32_e32 v8, v0, v8, vcc
	v_cmp_ne_u32_e32 vcc, 0, v6
	v_cndmask_b32_e64 v6, 0, 1, vcc
	v_lshl_or_b32 v6, v6, 9, v0
	v_cmp_eq_u32_e32 vcc, s8, v9
	v_cndmask_b32_e32 v6, v8, v6, vcc
	v_and_or_b32 v2, v3, s7, v2
	v_lshrrev_b32_e32 v7, 16, v7
	v_cmp_ne_u32_e32 vcc, 0, v2
	v_and_or_b32 v8, v7, s9, v6
	v_cndmask_b32_e64 v2, 0, 1, vcc
	v_lshrrev_b32_e32 v6, 8, v3
	v_bfe_u32 v7, v3, 20, 11
	v_and_or_b32 v2, v6, s6, v2
	v_sub_u32_e32 v9, 0x3f1, v7
	v_or_b32_e32 v6, 0x1000, v2
	v_med3_i32 v9, v9, 0, 13
	v_lshrrev_b32_e32 v10, v9, v6
	v_lshlrev_b32_e32 v9, v9, v10
	v_cmp_ne_u32_e32 vcc, v9, v6
	v_cndmask_b32_e64 v6, 0, 1, vcc
	v_add_u32_e32 v9, 0xfffffc10, v7
	v_or_b32_e32 v6, v10, v6
	v_lshl_or_b32 v7, v9, 12, v2
	v_cmp_gt_i32_e32 vcc, 1, v9
	v_cndmask_b32_e32 v6, v7, v6, vcc
	v_and_b32_e32 v7, 7, v6
	v_cmp_lt_i32_e32 vcc, 5, v7
	v_cmp_eq_u32_e64 s[0:1], 3, v7
	v_lshrrev_b32_e32 v6, 2, v6
	s_or_b64 vcc, s[0:1], vcc
	v_addc_co_u32_e32 v10, vcc, 0, v6, vcc
	ds_read2_b32 v[6:7], v31 offset0:16 offset1:24
	v_cmp_gt_i32_e32 vcc, 31, v9
	v_cndmask_b32_e32 v10, v0, v10, vcc
	v_cmp_ne_u32_e32 vcc, 0, v2
	v_cndmask_b32_e64 v2, 0, 1, vcc
	s_waitcnt lgkmcnt(0)
	v_lshrrev_b32_e32 v11, 16, v6
	v_mul_f16_sdwa v12, v38, v11 dst_sel:DWORD dst_unused:UNUSED_PAD src0_sel:WORD_1 src1_sel:DWORD
	v_fma_f16 v12, v38, v6, v12
	v_cvt_f32_f16_e32 v12, v12
	v_lshl_or_b32 v2, v2, 9, v0
	v_cmp_eq_u32_e32 vcc, s8, v9
	v_cndmask_b32_e32 v9, v10, v2, vcc
	v_lshrrev_b32_e32 v10, 16, v3
	v_cvt_f64_f32_e32 v[2:3], v12
	v_and_or_b32 v9, v10, s9, v9
	v_and_b32_e32 v8, 0xffff, v8
	v_lshl_or_b32 v10, v9, 16, v8
	v_mul_f64 v[8:9], v[2:3], s[2:3]
	s_lshl_b64 s[4:5], s[4:5], 5
	v_mov_b32_e32 v2, s5
	v_add_co_u32_e32 v3, vcc, s4, v4
	v_addc_co_u32_e32 v4, vcc, v5, v2, vcc
	global_store_dword v[3:4], v10, off
	v_and_or_b32 v5, v9, s7, v8
	v_cmp_ne_u32_e32 vcc, 0, v5
	v_cndmask_b32_e64 v5, 0, 1, vcc
	v_lshrrev_b32_e32 v8, 8, v9
	v_bfe_u32 v10, v9, 20, 11
	v_and_or_b32 v8, v8, s6, v5
	v_sub_u32_e32 v12, 0x3f1, v10
	v_or_b32_e32 v5, 0x1000, v8
	v_med3_i32 v12, v12, 0, 13
	v_lshrrev_b32_e32 v13, v12, v5
	v_mul_f16_sdwa v6, v38, v6 dst_sel:DWORD dst_unused:UNUSED_PAD src0_sel:WORD_1 src1_sel:DWORD
	v_lshlrev_b32_e32 v12, v12, v13
	v_fma_f16 v6, v38, v11, -v6
	v_cmp_ne_u32_e32 vcc, v12, v5
	v_cvt_f32_f16_e32 v6, v6
	v_cndmask_b32_e64 v5, 0, 1, vcc
	v_add_u32_e32 v10, 0xfffffc10, v10
	v_or_b32_e32 v5, v13, v5
	v_lshl_or_b32 v12, v10, 12, v8
	v_cmp_gt_i32_e32 vcc, 1, v10
	v_cndmask_b32_e32 v5, v12, v5, vcc
	v_and_b32_e32 v12, 7, v5
	v_lshrrev_b32_e32 v11, 2, v5
	v_cvt_f64_f32_e32 v[5:6], v6
	v_cmp_lt_i32_e32 vcc, 5, v12
	v_cmp_eq_u32_e64 s[0:1], 3, v12
	s_or_b64 vcc, s[0:1], vcc
	v_mul_f64 v[5:6], v[5:6], s[2:3]
	v_addc_co_u32_e32 v11, vcc, 0, v11, vcc
	v_cmp_gt_i32_e32 vcc, 31, v10
	v_cndmask_b32_e32 v11, v0, v11, vcc
	v_cmp_ne_u32_e32 vcc, 0, v8
	v_cndmask_b32_e64 v8, 0, 1, vcc
	v_lshl_or_b32 v8, v8, 9, v0
	v_cmp_eq_u32_e32 vcc, s8, v10
	v_and_or_b32 v5, v6, s7, v5
	v_cndmask_b32_e32 v8, v11, v8, vcc
	v_lshrrev_b32_e32 v9, 16, v9
	v_cmp_ne_u32_e32 vcc, 0, v5
	v_and_or_b32 v10, v9, s9, v8
	v_cndmask_b32_e64 v5, 0, 1, vcc
	v_lshrrev_b32_e32 v8, 8, v6
	v_bfe_u32 v9, v6, 20, 11
	v_and_or_b32 v5, v8, s6, v5
	v_sub_u32_e32 v11, 0x3f1, v9
	v_or_b32_e32 v8, 0x1000, v5
	v_med3_i32 v11, v11, 0, 13
	v_lshrrev_b32_e32 v12, v11, v8
	v_lshlrev_b32_e32 v11, v11, v12
	v_cmp_ne_u32_e32 vcc, v11, v8
	v_cndmask_b32_e64 v8, 0, 1, vcc
	v_add_u32_e32 v11, 0xfffffc10, v9
	v_or_b32_e32 v8, v12, v8
	v_lshl_or_b32 v9, v11, 12, v5
	v_cmp_gt_i32_e32 vcc, 1, v11
	v_cndmask_b32_e32 v8, v9, v8, vcc
	v_and_b32_e32 v9, 7, v8
	v_cmp_lt_i32_e32 vcc, 5, v9
	v_cmp_eq_u32_e64 s[0:1], 3, v9
	v_lshrrev_b32_e32 v8, 2, v8
	s_or_b64 vcc, s[0:1], vcc
	v_addc_co_u32_e32 v8, vcc, 0, v8, vcc
	v_cmp_gt_i32_e32 vcc, 31, v11
	v_lshrrev_b32_e32 v13, 16, v7
	v_cndmask_b32_e32 v12, v0, v8, vcc
	v_mul_f16_sdwa v8, v37, v13 dst_sel:DWORD dst_unused:UNUSED_PAD src0_sel:WORD_1 src1_sel:DWORD
	v_fma_f16 v8, v37, v7, v8
	v_cvt_f32_f16_e32 v8, v8
	v_cmp_ne_u32_e32 vcc, 0, v5
	v_cndmask_b32_e64 v5, 0, 1, vcc
	v_lshl_or_b32 v5, v5, 9, v0
	v_cvt_f64_f32_e32 v[8:9], v8
	v_cmp_eq_u32_e32 vcc, s8, v11
	v_cndmask_b32_e32 v5, v12, v5, vcc
	v_lshrrev_b32_e32 v6, 16, v6
	v_and_or_b32 v11, v6, s9, v5
	v_mul_f64 v[5:6], v[8:9], s[2:3]
	v_add_co_u32_e32 v3, vcc, s4, v3
	v_and_b32_e32 v8, 0xffff, v10
	v_addc_co_u32_e32 v4, vcc, v4, v2, vcc
	v_lshl_or_b32 v8, v11, 16, v8
	global_store_dword v[3:4], v8, off
	v_and_or_b32 v5, v6, s7, v5
	v_cmp_ne_u32_e32 vcc, 0, v5
	v_cndmask_b32_e64 v5, 0, 1, vcc
	v_lshrrev_b32_e32 v8, 8, v6
	v_bfe_u32 v9, v6, 20, 11
	v_and_or_b32 v5, v8, s6, v5
	v_sub_u32_e32 v10, 0x3f1, v9
	v_or_b32_e32 v8, 0x1000, v5
	v_med3_i32 v10, v10, 0, 13
	v_lshrrev_b32_e32 v11, v10, v8
	v_lshlrev_b32_e32 v10, v10, v11
	v_mul_f16_sdwa v7, v37, v7 dst_sel:DWORD dst_unused:UNUSED_PAD src0_sel:WORD_1 src1_sel:DWORD
	v_cmp_ne_u32_e32 vcc, v10, v8
	v_fma_f16 v7, v37, v13, -v7
	v_cndmask_b32_e64 v8, 0, 1, vcc
	v_add_u32_e32 v9, 0xfffffc10, v9
	v_cvt_f32_f16_e32 v7, v7
	v_or_b32_e32 v8, v11, v8
	v_lshl_or_b32 v10, v9, 12, v5
	v_cmp_gt_i32_e32 vcc, 1, v9
	v_cndmask_b32_e32 v8, v10, v8, vcc
	v_and_b32_e32 v10, 7, v8
	v_cmp_lt_i32_e32 vcc, 5, v10
	v_cmp_eq_u32_e64 s[0:1], 3, v10
	v_lshrrev_b32_e32 v10, 2, v8
	v_cvt_f64_f32_e32 v[7:8], v7
	s_or_b64 vcc, s[0:1], vcc
	v_addc_co_u32_e32 v10, vcc, 0, v10, vcc
	v_mul_f64 v[7:8], v[7:8], s[2:3]
	v_cmp_gt_i32_e32 vcc, 31, v9
	v_cndmask_b32_e32 v10, v0, v10, vcc
	v_cmp_ne_u32_e32 vcc, 0, v5
	v_cndmask_b32_e64 v5, 0, 1, vcc
	v_lshl_or_b32 v5, v5, 9, v0
	v_cmp_eq_u32_e32 vcc, s8, v9
	v_cndmask_b32_e32 v5, v10, v5, vcc
	v_lshrrev_b32_e32 v6, 16, v6
	v_and_or_b32 v11, v6, s9, v5
	v_and_or_b32 v5, v8, s7, v7
	v_cmp_ne_u32_e32 vcc, 0, v5
	v_cndmask_b32_e64 v5, 0, 1, vcc
	v_lshrrev_b32_e32 v6, 8, v8
	v_and_or_b32 v7, v6, s6, v5
	v_bfe_u32 v6, v8, 20, 11
	v_sub_u32_e32 v9, 0x3f1, v6
	v_or_b32_e32 v5, 0x1000, v7
	v_med3_i32 v9, v9, 0, 13
	v_lshrrev_b32_e32 v10, v9, v5
	v_lshlrev_b32_e32 v9, v9, v10
	v_cmp_ne_u32_e32 vcc, v9, v5
	v_cndmask_b32_e64 v5, 0, 1, vcc
	v_add_u32_e32 v12, 0xfffffc10, v6
	v_or_b32_e32 v5, v10, v5
	v_lshl_or_b32 v6, v12, 12, v7
	v_cmp_gt_i32_e32 vcc, 1, v12
	v_cndmask_b32_e32 v5, v6, v5, vcc
	v_and_b32_e32 v6, 7, v5
	v_cmp_lt_i32_e32 vcc, 5, v6
	v_cmp_eq_u32_e64 s[0:1], 3, v6
	v_lshrrev_b32_e32 v9, 2, v5
	ds_read2_b32 v[5:6], v31 offset0:32 offset1:40
	s_or_b64 vcc, s[0:1], vcc
	v_addc_co_u32_e32 v9, vcc, 0, v9, vcc
	v_cmp_gt_i32_e32 vcc, 31, v12
	s_waitcnt lgkmcnt(0)
	v_lshrrev_b32_e32 v14, 16, v5
	v_cndmask_b32_e32 v13, v0, v9, vcc
	v_mul_f16_sdwa v9, v36, v14 dst_sel:DWORD dst_unused:UNUSED_PAD src0_sel:WORD_1 src1_sel:DWORD
	v_fma_f16 v9, v36, v5, v9
	v_cvt_f32_f16_e32 v9, v9
	v_cmp_ne_u32_e32 vcc, 0, v7
	v_cndmask_b32_e64 v7, 0, 1, vcc
	v_lshl_or_b32 v7, v7, 9, v0
	v_cvt_f64_f32_e32 v[9:10], v9
	v_cmp_eq_u32_e32 vcc, s8, v12
	v_cndmask_b32_e32 v7, v13, v7, vcc
	v_lshrrev_b32_e32 v8, 16, v8
	v_and_or_b32 v12, v8, s9, v7
	v_mul_f64 v[7:8], v[9:10], s[2:3]
	v_add_co_u32_e32 v3, vcc, s4, v3
	v_and_b32_e32 v9, 0xffff, v11
	v_addc_co_u32_e32 v4, vcc, v4, v2, vcc
	v_lshl_or_b32 v9, v12, 16, v9
	global_store_dword v[3:4], v9, off
	v_and_or_b32 v7, v8, s7, v7
	v_cmp_ne_u32_e32 vcc, 0, v7
	v_cndmask_b32_e64 v7, 0, 1, vcc
	v_lshrrev_b32_e32 v9, 8, v8
	v_bfe_u32 v10, v8, 20, 11
	v_and_or_b32 v7, v9, s6, v7
	v_sub_u32_e32 v11, 0x3f1, v10
	v_or_b32_e32 v9, 0x1000, v7
	v_med3_i32 v11, v11, 0, 13
	v_lshrrev_b32_e32 v12, v11, v9
	v_lshlrev_b32_e32 v11, v11, v12
	v_mul_f16_sdwa v5, v36, v5 dst_sel:DWORD dst_unused:UNUSED_PAD src0_sel:WORD_1 src1_sel:DWORD
	v_cmp_ne_u32_e32 vcc, v11, v9
	v_fma_f16 v5, v36, v14, -v5
	v_cndmask_b32_e64 v9, 0, 1, vcc
	v_add_u32_e32 v11, 0xfffffc10, v10
	v_cvt_f32_f16_e32 v5, v5
	v_or_b32_e32 v9, v12, v9
	v_lshl_or_b32 v10, v11, 12, v7
	v_cmp_gt_i32_e32 vcc, 1, v11
	v_cndmask_b32_e32 v9, v10, v9, vcc
	v_and_b32_e32 v10, 7, v9
	v_cmp_lt_i32_e32 vcc, 5, v10
	v_cmp_eq_u32_e64 s[0:1], 3, v10
	v_lshrrev_b32_e32 v12, 2, v9
	v_cvt_f64_f32_e32 v[9:10], v5
	s_or_b64 vcc, s[0:1], vcc
	v_addc_co_u32_e32 v5, vcc, 0, v12, vcc
	v_mul_f64 v[9:10], v[9:10], s[2:3]
	v_cmp_gt_i32_e32 vcc, 31, v11
	v_cndmask_b32_e32 v5, v0, v5, vcc
	v_cmp_ne_u32_e32 vcc, 0, v7
	v_cndmask_b32_e64 v7, 0, 1, vcc
	v_lshl_or_b32 v7, v7, 9, v0
	v_cmp_eq_u32_e32 vcc, s8, v11
	v_cndmask_b32_e32 v5, v5, v7, vcc
	v_lshrrev_b32_e32 v7, 16, v8
	v_and_or_b32 v5, v7, s9, v5
	v_and_or_b32 v7, v10, s7, v9
	v_cmp_ne_u32_e32 vcc, 0, v7
	v_cndmask_b32_e64 v7, 0, 1, vcc
	v_lshrrev_b32_e32 v8, 8, v10
	v_bfe_u32 v9, v10, 20, 11
	v_and_or_b32 v7, v8, s6, v7
	v_sub_u32_e32 v11, 0x3f1, v9
	v_or_b32_e32 v8, 0x1000, v7
	v_med3_i32 v11, v11, 0, 13
	v_lshrrev_b32_e32 v12, v11, v8
	v_lshlrev_b32_e32 v11, v11, v12
	v_cmp_ne_u32_e32 vcc, v11, v8
	v_cndmask_b32_e64 v8, 0, 1, vcc
	v_add_u32_e32 v9, 0xfffffc10, v9
	v_or_b32_e32 v8, v12, v8
	v_lshl_or_b32 v11, v9, 12, v7
	v_cmp_gt_i32_e32 vcc, 1, v9
	v_cndmask_b32_e32 v8, v11, v8, vcc
	v_and_b32_e32 v11, 7, v8
	v_cmp_lt_i32_e32 vcc, 5, v11
	v_cmp_eq_u32_e64 s[0:1], 3, v11
	v_lshrrev_b32_e32 v8, 2, v8
	s_or_b64 vcc, s[0:1], vcc
	v_addc_co_u32_e32 v8, vcc, 0, v8, vcc
	v_cmp_gt_i32_e32 vcc, 31, v9
	v_lshrrev_b32_e32 v12, 16, v6
	v_cndmask_b32_e32 v11, v0, v8, vcc
	v_mul_f16_sdwa v8, v35, v12 dst_sel:DWORD dst_unused:UNUSED_PAD src0_sel:WORD_1 src1_sel:DWORD
	v_fma_f16 v8, v35, v6, v8
	v_cvt_f32_f16_e32 v8, v8
	v_cmp_ne_u32_e32 vcc, 0, v7
	v_cndmask_b32_e64 v7, 0, 1, vcc
	v_lshl_or_b32 v13, v7, 9, v0
	v_cvt_f64_f32_e32 v[7:8], v8
	v_cmp_eq_u32_e32 vcc, s8, v9
	v_cndmask_b32_e32 v9, v11, v13, vcc
	v_lshrrev_b32_e32 v10, 16, v10
	v_mul_f64 v[7:8], v[7:8], s[2:3]
	v_and_or_b32 v9, v10, s9, v9
	v_and_b32_e32 v5, 0xffff, v5
	v_add_co_u32_e32 v3, vcc, s4, v3
	v_lshl_or_b32 v5, v9, 16, v5
	v_addc_co_u32_e32 v4, vcc, v4, v2, vcc
	global_store_dword v[3:4], v5, off
	v_and_or_b32 v5, v8, s7, v7
	v_cmp_ne_u32_e32 vcc, 0, v5
	v_cndmask_b32_e64 v5, 0, 1, vcc
	v_lshrrev_b32_e32 v7, 8, v8
	v_bfe_u32 v9, v8, 20, 11
	v_and_or_b32 v7, v7, s6, v5
	v_sub_u32_e32 v10, 0x3f1, v9
	v_or_b32_e32 v5, 0x1000, v7
	v_med3_i32 v10, v10, 0, 13
	v_lshrrev_b32_e32 v11, v10, v5
	v_lshlrev_b32_e32 v10, v10, v11
	v_mul_f16_sdwa v6, v35, v6 dst_sel:DWORD dst_unused:UNUSED_PAD src0_sel:WORD_1 src1_sel:DWORD
	v_cmp_ne_u32_e32 vcc, v10, v5
	v_fma_f16 v6, v35, v12, -v6
	v_cndmask_b32_e64 v5, 0, 1, vcc
	v_add_u32_e32 v9, 0xfffffc10, v9
	v_cvt_f32_f16_e32 v6, v6
	v_or_b32_e32 v5, v11, v5
	v_lshl_or_b32 v10, v9, 12, v7
	v_cmp_gt_i32_e32 vcc, 1, v9
	v_cndmask_b32_e32 v5, v10, v5, vcc
	v_and_b32_e32 v10, 7, v5
	v_cmp_lt_i32_e32 vcc, 5, v10
	v_cmp_eq_u32_e64 s[0:1], 3, v10
	v_lshrrev_b32_e32 v10, 2, v5
	v_cvt_f64_f32_e32 v[5:6], v6
	s_or_b64 vcc, s[0:1], vcc
	v_addc_co_u32_e32 v10, vcc, 0, v10, vcc
	v_mul_f64 v[5:6], v[5:6], s[2:3]
	v_cmp_gt_i32_e32 vcc, 31, v9
	v_cndmask_b32_e32 v10, v0, v10, vcc
	v_cmp_ne_u32_e32 vcc, 0, v7
	v_cndmask_b32_e64 v7, 0, 1, vcc
	v_lshl_or_b32 v7, v7, 9, v0
	v_cmp_eq_u32_e32 vcc, s8, v9
	v_cndmask_b32_e32 v7, v10, v7, vcc
	v_and_or_b32 v5, v6, s7, v5
	v_lshrrev_b32_e32 v8, 16, v8
	v_cmp_ne_u32_e32 vcc, 0, v5
	v_and_or_b32 v11, v8, s9, v7
	v_cndmask_b32_e64 v5, 0, 1, vcc
	v_lshrrev_b32_e32 v7, 8, v6
	v_bfe_u32 v8, v6, 20, 11
	v_and_or_b32 v5, v7, s6, v5
	v_sub_u32_e32 v9, 0x3f1, v8
	v_or_b32_e32 v7, 0x1000, v5
	v_med3_i32 v9, v9, 0, 13
	v_lshrrev_b32_e32 v10, v9, v7
	v_lshlrev_b32_e32 v9, v9, v10
	v_cmp_ne_u32_e32 vcc, v9, v7
	v_cndmask_b32_e64 v7, 0, 1, vcc
	v_add_u32_e32 v12, 0xfffffc10, v8
	v_or_b32_e32 v7, v10, v7
	v_lshl_or_b32 v8, v12, 12, v5
	v_cmp_gt_i32_e32 vcc, 1, v12
	v_cndmask_b32_e32 v7, v8, v7, vcc
	v_and_b32_e32 v8, 7, v7
	v_cmp_lt_i32_e32 vcc, 5, v8
	v_cmp_eq_u32_e64 s[0:1], 3, v8
	v_lshrrev_b32_e32 v9, 2, v7
	ds_read2_b32 v[7:8], v31 offset0:48 offset1:56
	s_or_b64 vcc, s[0:1], vcc
	v_addc_co_u32_e32 v9, vcc, 0, v9, vcc
	v_cmp_gt_i32_e32 vcc, 31, v12
	s_waitcnt lgkmcnt(0)
	v_lshrrev_b32_e32 v14, 16, v7
	v_cndmask_b32_e32 v13, v0, v9, vcc
	v_mul_f16_sdwa v9, v34, v14 dst_sel:DWORD dst_unused:UNUSED_PAD src0_sel:WORD_1 src1_sel:DWORD
	v_fma_f16 v9, v34, v7, v9
	v_cvt_f32_f16_e32 v9, v9
	v_cmp_ne_u32_e32 vcc, 0, v5
	v_cndmask_b32_e64 v5, 0, 1, vcc
	v_lshl_or_b32 v5, v5, 9, v0
	v_cvt_f64_f32_e32 v[9:10], v9
	v_cmp_eq_u32_e32 vcc, s8, v12
	v_cndmask_b32_e32 v5, v13, v5, vcc
	v_lshrrev_b32_e32 v6, 16, v6
	v_and_or_b32 v12, v6, s9, v5
	v_mul_f64 v[5:6], v[9:10], s[2:3]
	v_add_co_u32_e32 v3, vcc, s4, v3
	v_and_b32_e32 v9, 0xffff, v11
	v_addc_co_u32_e32 v4, vcc, v4, v2, vcc
	v_lshl_or_b32 v9, v12, 16, v9
	global_store_dword v[3:4], v9, off
	v_and_or_b32 v5, v6, s7, v5
	v_cmp_ne_u32_e32 vcc, 0, v5
	v_cndmask_b32_e64 v5, 0, 1, vcc
	v_lshrrev_b32_e32 v9, 8, v6
	v_bfe_u32 v10, v6, 20, 11
	v_and_or_b32 v5, v9, s6, v5
	v_sub_u32_e32 v11, 0x3f1, v10
	v_or_b32_e32 v9, 0x1000, v5
	v_med3_i32 v11, v11, 0, 13
	v_lshrrev_b32_e32 v12, v11, v9
	v_lshlrev_b32_e32 v11, v11, v12
	v_mul_f16_sdwa v7, v34, v7 dst_sel:DWORD dst_unused:UNUSED_PAD src0_sel:WORD_1 src1_sel:DWORD
	v_cmp_ne_u32_e32 vcc, v11, v9
	v_fma_f16 v7, v34, v14, -v7
	v_cndmask_b32_e64 v9, 0, 1, vcc
	v_add_u32_e32 v11, 0xfffffc10, v10
	v_cvt_f32_f16_e32 v7, v7
	v_or_b32_e32 v9, v12, v9
	v_lshl_or_b32 v10, v11, 12, v5
	v_cmp_gt_i32_e32 vcc, 1, v11
	v_cndmask_b32_e32 v9, v10, v9, vcc
	v_and_b32_e32 v10, 7, v9
	v_cmp_lt_i32_e32 vcc, 5, v10
	v_cmp_eq_u32_e64 s[0:1], 3, v10
	v_lshrrev_b32_e32 v12, 2, v9
	v_cvt_f64_f32_e32 v[9:10], v7
	s_or_b64 vcc, s[0:1], vcc
	v_addc_co_u32_e32 v7, vcc, 0, v12, vcc
	v_mul_f64 v[9:10], v[9:10], s[2:3]
	v_cmp_gt_i32_e32 vcc, 31, v11
	v_cndmask_b32_e32 v7, v0, v7, vcc
	v_cmp_ne_u32_e32 vcc, 0, v5
	v_cndmask_b32_e64 v5, 0, 1, vcc
	v_lshl_or_b32 v5, v5, 9, v0
	v_cmp_eq_u32_e32 vcc, s8, v11
	v_cndmask_b32_e32 v5, v7, v5, vcc
	v_lshrrev_b32_e32 v6, 16, v6
	v_and_or_b32 v7, v6, s9, v5
	v_and_or_b32 v5, v10, s7, v9
	v_cmp_ne_u32_e32 vcc, 0, v5
	v_cndmask_b32_e64 v5, 0, 1, vcc
	v_lshrrev_b32_e32 v6, 8, v10
	v_bfe_u32 v9, v10, 20, 11
	v_and_or_b32 v5, v6, s6, v5
	v_sub_u32_e32 v11, 0x3f1, v9
	v_or_b32_e32 v6, 0x1000, v5
	v_med3_i32 v11, v11, 0, 13
	v_lshrrev_b32_e32 v12, v11, v6
	v_lshlrev_b32_e32 v11, v11, v12
	v_cmp_ne_u32_e32 vcc, v11, v6
	v_cndmask_b32_e64 v6, 0, 1, vcc
	v_add_u32_e32 v9, 0xfffffc10, v9
	v_or_b32_e32 v6, v12, v6
	v_lshl_or_b32 v11, v9, 12, v5
	v_cmp_gt_i32_e32 vcc, 1, v9
	v_cndmask_b32_e32 v6, v11, v6, vcc
	v_and_b32_e32 v11, 7, v6
	v_cmp_lt_i32_e32 vcc, 5, v11
	v_cmp_eq_u32_e64 s[0:1], 3, v11
	v_lshrrev_b32_e32 v6, 2, v6
	s_or_b64 vcc, s[0:1], vcc
	v_addc_co_u32_e32 v6, vcc, 0, v6, vcc
	v_cmp_gt_i32_e32 vcc, 31, v9
	v_lshrrev_b32_e32 v12, 16, v8
	v_cndmask_b32_e32 v11, v0, v6, vcc
	v_mul_f16_sdwa v6, v33, v12 dst_sel:DWORD dst_unused:UNUSED_PAD src0_sel:WORD_1 src1_sel:DWORD
	v_fma_f16 v6, v33, v8, v6
	v_cvt_f32_f16_e32 v6, v6
	v_cmp_ne_u32_e32 vcc, 0, v5
	v_cndmask_b32_e64 v5, 0, 1, vcc
	v_lshl_or_b32 v13, v5, 9, v0
	v_cvt_f64_f32_e32 v[5:6], v6
	v_cmp_eq_u32_e32 vcc, s8, v9
	v_cndmask_b32_e32 v9, v11, v13, vcc
	v_lshrrev_b32_e32 v10, 16, v10
	v_mul_f64 v[5:6], v[5:6], s[2:3]
	v_add_co_u32_e32 v3, vcc, s4, v3
	v_and_or_b32 v9, v10, s9, v9
	v_and_b32_e32 v7, 0xffff, v7
	v_addc_co_u32_e32 v4, vcc, v4, v2, vcc
	v_lshl_or_b32 v7, v9, 16, v7
	v_and_or_b32 v5, v6, s7, v5
	v_cmp_ne_u32_e32 vcc, 0, v5
	global_store_dword v[3:4], v7, off
	v_cndmask_b32_e64 v5, 0, 1, vcc
	v_lshrrev_b32_e32 v7, 8, v6
	v_bfe_u32 v9, v6, 20, 11
	v_and_or_b32 v5, v7, s6, v5
	v_sub_u32_e32 v10, 0x3f1, v9
	v_or_b32_e32 v7, 0x1000, v5
	v_med3_i32 v10, v10, 0, 13
	v_lshrrev_b32_e32 v11, v10, v7
	v_lshlrev_b32_e32 v10, v10, v11
	v_mul_f16_sdwa v8, v33, v8 dst_sel:DWORD dst_unused:UNUSED_PAD src0_sel:WORD_1 src1_sel:DWORD
	v_cmp_ne_u32_e32 vcc, v10, v7
	v_fma_f16 v8, v33, v12, -v8
	v_cndmask_b32_e64 v7, 0, 1, vcc
	v_add_u32_e32 v9, 0xfffffc10, v9
	v_cvt_f32_f16_e32 v8, v8
	v_or_b32_e32 v7, v11, v7
	v_lshl_or_b32 v10, v9, 12, v5
	v_cmp_gt_i32_e32 vcc, 1, v9
	v_cndmask_b32_e32 v7, v10, v7, vcc
	v_and_b32_e32 v10, 7, v7
	v_cmp_lt_i32_e32 vcc, 5, v10
	v_cmp_eq_u32_e64 s[0:1], 3, v10
	v_lshrrev_b32_e32 v10, 2, v7
	v_cvt_f64_f32_e32 v[7:8], v8
	s_or_b64 vcc, s[0:1], vcc
	v_addc_co_u32_e32 v10, vcc, 0, v10, vcc
	v_mul_f64 v[7:8], v[7:8], s[2:3]
	v_cmp_gt_i32_e32 vcc, 31, v9
	v_cndmask_b32_e32 v10, v0, v10, vcc
	v_cmp_ne_u32_e32 vcc, 0, v5
	v_cndmask_b32_e64 v5, 0, 1, vcc
	v_lshl_or_b32 v5, v5, 9, v0
	v_cmp_eq_u32_e32 vcc, s8, v9
	v_cndmask_b32_e32 v5, v10, v5, vcc
	v_lshrrev_b32_e32 v6, 16, v6
	v_and_or_b32 v11, v6, s9, v5
	v_and_or_b32 v5, v8, s7, v7
	v_cmp_ne_u32_e32 vcc, 0, v5
	v_cndmask_b32_e64 v5, 0, 1, vcc
	v_lshrrev_b32_e32 v6, 8, v8
	v_and_or_b32 v7, v6, s6, v5
	v_bfe_u32 v6, v8, 20, 11
	v_sub_u32_e32 v9, 0x3f1, v6
	v_or_b32_e32 v5, 0x1000, v7
	v_med3_i32 v9, v9, 0, 13
	v_lshrrev_b32_e32 v10, v9, v5
	v_lshlrev_b32_e32 v9, v9, v10
	v_cmp_ne_u32_e32 vcc, v9, v5
	v_cndmask_b32_e64 v5, 0, 1, vcc
	v_add_u32_e32 v12, 0xfffffc10, v6
	v_or_b32_e32 v5, v10, v5
	v_lshl_or_b32 v6, v12, 12, v7
	v_cmp_gt_i32_e32 vcc, 1, v12
	v_cndmask_b32_e32 v5, v6, v5, vcc
	v_and_b32_e32 v6, 7, v5
	v_cmp_lt_i32_e32 vcc, 5, v6
	v_cmp_eq_u32_e64 s[0:1], 3, v6
	v_lshrrev_b32_e32 v9, 2, v5
	ds_read2_b32 v[5:6], v31 offset0:64 offset1:72
	s_or_b64 vcc, s[0:1], vcc
	v_addc_co_u32_e32 v9, vcc, 0, v9, vcc
	v_cmp_gt_i32_e32 vcc, 31, v12
	s_waitcnt lgkmcnt(0)
	v_lshrrev_b32_e32 v14, 16, v5
	v_cndmask_b32_e32 v13, v0, v9, vcc
	v_mul_f16_sdwa v9, v32, v14 dst_sel:DWORD dst_unused:UNUSED_PAD src0_sel:WORD_1 src1_sel:DWORD
	v_fma_f16 v9, v32, v5, v9
	v_cvt_f32_f16_e32 v9, v9
	v_cmp_ne_u32_e32 vcc, 0, v7
	v_cndmask_b32_e64 v7, 0, 1, vcc
	v_lshl_or_b32 v7, v7, 9, v0
	v_cvt_f64_f32_e32 v[9:10], v9
	v_cmp_eq_u32_e32 vcc, s8, v12
	v_cndmask_b32_e32 v7, v13, v7, vcc
	v_lshrrev_b32_e32 v8, 16, v8
	v_and_or_b32 v12, v8, s9, v7
	v_mul_f64 v[7:8], v[9:10], s[2:3]
	v_add_co_u32_e32 v3, vcc, s4, v3
	v_and_b32_e32 v9, 0xffff, v11
	v_addc_co_u32_e32 v4, vcc, v4, v2, vcc
	v_lshl_or_b32 v9, v12, 16, v9
	global_store_dword v[3:4], v9, off
	v_and_or_b32 v7, v8, s7, v7
	v_cmp_ne_u32_e32 vcc, 0, v7
	v_cndmask_b32_e64 v7, 0, 1, vcc
	v_lshrrev_b32_e32 v9, 8, v8
	v_bfe_u32 v10, v8, 20, 11
	v_and_or_b32 v7, v9, s6, v7
	v_sub_u32_e32 v11, 0x3f1, v10
	v_or_b32_e32 v9, 0x1000, v7
	v_med3_i32 v11, v11, 0, 13
	v_lshrrev_b32_e32 v12, v11, v9
	v_lshlrev_b32_e32 v11, v11, v12
	v_mul_f16_sdwa v5, v32, v5 dst_sel:DWORD dst_unused:UNUSED_PAD src0_sel:WORD_1 src1_sel:DWORD
	v_cmp_ne_u32_e32 vcc, v11, v9
	v_fma_f16 v5, v32, v14, -v5
	v_cndmask_b32_e64 v9, 0, 1, vcc
	v_add_u32_e32 v11, 0xfffffc10, v10
	v_cvt_f32_f16_e32 v5, v5
	v_or_b32_e32 v9, v12, v9
	v_lshl_or_b32 v10, v11, 12, v7
	v_cmp_gt_i32_e32 vcc, 1, v11
	v_cndmask_b32_e32 v9, v10, v9, vcc
	v_and_b32_e32 v10, 7, v9
	v_cmp_lt_i32_e32 vcc, 5, v10
	v_cmp_eq_u32_e64 s[0:1], 3, v10
	v_lshrrev_b32_e32 v12, 2, v9
	v_cvt_f64_f32_e32 v[9:10], v5
	s_or_b64 vcc, s[0:1], vcc
	v_addc_co_u32_e32 v5, vcc, 0, v12, vcc
	v_mul_f64 v[9:10], v[9:10], s[2:3]
	v_cmp_gt_i32_e32 vcc, 31, v11
	v_cndmask_b32_e32 v5, v0, v5, vcc
	v_cmp_ne_u32_e32 vcc, 0, v7
	v_cndmask_b32_e64 v7, 0, 1, vcc
	v_lshl_or_b32 v7, v7, 9, v0
	v_cmp_eq_u32_e32 vcc, s8, v11
	v_cndmask_b32_e32 v5, v5, v7, vcc
	v_lshrrev_b32_e32 v7, 16, v8
	v_and_or_b32 v5, v7, s9, v5
	v_and_or_b32 v7, v10, s7, v9
	v_cmp_ne_u32_e32 vcc, 0, v7
	v_cndmask_b32_e64 v7, 0, 1, vcc
	v_lshrrev_b32_e32 v8, 8, v10
	v_bfe_u32 v9, v10, 20, 11
	v_and_or_b32 v7, v8, s6, v7
	v_sub_u32_e32 v11, 0x3f1, v9
	v_or_b32_e32 v8, 0x1000, v7
	v_med3_i32 v11, v11, 0, 13
	v_lshrrev_b32_e32 v12, v11, v8
	v_lshlrev_b32_e32 v11, v11, v12
	v_cmp_ne_u32_e32 vcc, v11, v8
	v_cndmask_b32_e64 v8, 0, 1, vcc
	v_add_u32_e32 v9, 0xfffffc10, v9
	v_or_b32_e32 v8, v12, v8
	v_lshl_or_b32 v11, v9, 12, v7
	v_cmp_gt_i32_e32 vcc, 1, v9
	v_cndmask_b32_e32 v8, v11, v8, vcc
	v_and_b32_e32 v11, 7, v8
	v_cmp_lt_i32_e32 vcc, 5, v11
	v_cmp_eq_u32_e64 s[0:1], 3, v11
	v_lshrrev_b32_e32 v8, 2, v8
	s_or_b64 vcc, s[0:1], vcc
	v_addc_co_u32_e32 v8, vcc, 0, v8, vcc
	v_cmp_gt_i32_e32 vcc, 31, v9
	v_lshrrev_b32_e32 v12, 16, v6
	v_cndmask_b32_e32 v11, v0, v8, vcc
	v_mul_f16_sdwa v8, v30, v12 dst_sel:DWORD dst_unused:UNUSED_PAD src0_sel:WORD_1 src1_sel:DWORD
	v_fma_f16 v8, v30, v6, v8
	v_cvt_f32_f16_e32 v8, v8
	v_cmp_ne_u32_e32 vcc, 0, v7
	v_cndmask_b32_e64 v7, 0, 1, vcc
	v_lshl_or_b32 v13, v7, 9, v0
	v_cvt_f64_f32_e32 v[7:8], v8
	v_cmp_eq_u32_e32 vcc, s8, v9
	v_cndmask_b32_e32 v9, v11, v13, vcc
	v_lshrrev_b32_e32 v10, 16, v10
	v_mul_f64 v[7:8], v[7:8], s[2:3]
	v_and_or_b32 v9, v10, s9, v9
	v_and_b32_e32 v5, 0xffff, v5
	v_add_co_u32_e32 v3, vcc, s4, v3
	v_lshl_or_b32 v5, v9, 16, v5
	v_addc_co_u32_e32 v4, vcc, v4, v2, vcc
	global_store_dword v[3:4], v5, off
	v_and_or_b32 v5, v8, s7, v7
	v_cmp_ne_u32_e32 vcc, 0, v5
	v_cndmask_b32_e64 v5, 0, 1, vcc
	v_lshrrev_b32_e32 v7, 8, v8
	v_bfe_u32 v9, v8, 20, 11
	v_and_or_b32 v7, v7, s6, v5
	v_sub_u32_e32 v10, 0x3f1, v9
	v_or_b32_e32 v5, 0x1000, v7
	v_med3_i32 v10, v10, 0, 13
	v_lshrrev_b32_e32 v11, v10, v5
	v_lshlrev_b32_e32 v10, v10, v11
	v_mul_f16_sdwa v6, v30, v6 dst_sel:DWORD dst_unused:UNUSED_PAD src0_sel:WORD_1 src1_sel:DWORD
	v_cmp_ne_u32_e32 vcc, v10, v5
	v_fma_f16 v6, v30, v12, -v6
	v_cndmask_b32_e64 v5, 0, 1, vcc
	v_add_u32_e32 v9, 0xfffffc10, v9
	v_cvt_f32_f16_e32 v6, v6
	v_or_b32_e32 v5, v11, v5
	v_lshl_or_b32 v10, v9, 12, v7
	v_cmp_gt_i32_e32 vcc, 1, v9
	v_cndmask_b32_e32 v5, v10, v5, vcc
	v_and_b32_e32 v10, 7, v5
	v_cmp_lt_i32_e32 vcc, 5, v10
	v_cmp_eq_u32_e64 s[0:1], 3, v10
	v_lshrrev_b32_e32 v10, 2, v5
	v_cvt_f64_f32_e32 v[5:6], v6
	s_or_b64 vcc, s[0:1], vcc
	v_addc_co_u32_e32 v10, vcc, 0, v10, vcc
	v_mul_f64 v[5:6], v[5:6], s[2:3]
	v_cmp_gt_i32_e32 vcc, 31, v9
	v_cndmask_b32_e32 v10, v0, v10, vcc
	v_cmp_ne_u32_e32 vcc, 0, v7
	v_cndmask_b32_e64 v7, 0, 1, vcc
	v_lshl_or_b32 v7, v7, 9, v0
	v_cmp_eq_u32_e32 vcc, s8, v9
	v_cndmask_b32_e32 v7, v10, v7, vcc
	v_and_or_b32 v5, v6, s7, v5
	v_lshrrev_b32_e32 v8, 16, v8
	v_cmp_ne_u32_e32 vcc, 0, v5
	v_and_or_b32 v11, v8, s9, v7
	v_cndmask_b32_e64 v5, 0, 1, vcc
	v_lshrrev_b32_e32 v7, 8, v6
	v_bfe_u32 v8, v6, 20, 11
	v_and_or_b32 v5, v7, s6, v5
	v_sub_u32_e32 v9, 0x3f1, v8
	v_or_b32_e32 v7, 0x1000, v5
	v_med3_i32 v9, v9, 0, 13
	v_lshrrev_b32_e32 v10, v9, v7
	v_lshlrev_b32_e32 v9, v9, v10
	v_cmp_ne_u32_e32 vcc, v9, v7
	v_cndmask_b32_e64 v7, 0, 1, vcc
	v_add_u32_e32 v12, 0xfffffc10, v8
	v_or_b32_e32 v7, v10, v7
	v_lshl_or_b32 v8, v12, 12, v5
	v_cmp_gt_i32_e32 vcc, 1, v12
	v_cndmask_b32_e32 v7, v8, v7, vcc
	v_and_b32_e32 v8, 7, v7
	v_cmp_lt_i32_e32 vcc, 5, v8
	v_cmp_eq_u32_e64 s[0:1], 3, v8
	v_lshrrev_b32_e32 v9, 2, v7
	ds_read2_b32 v[7:8], v31 offset0:80 offset1:88
	s_or_b64 vcc, s[0:1], vcc
	v_addc_co_u32_e32 v9, vcc, 0, v9, vcc
	v_cmp_gt_i32_e32 vcc, 31, v12
	s_waitcnt lgkmcnt(0)
	v_lshrrev_b32_e32 v14, 16, v7
	v_cndmask_b32_e32 v13, v0, v9, vcc
	v_mul_f16_sdwa v9, v29, v14 dst_sel:DWORD dst_unused:UNUSED_PAD src0_sel:WORD_1 src1_sel:DWORD
	v_fma_f16 v9, v29, v7, v9
	v_cvt_f32_f16_e32 v9, v9
	v_cmp_ne_u32_e32 vcc, 0, v5
	v_cndmask_b32_e64 v5, 0, 1, vcc
	v_lshl_or_b32 v5, v5, 9, v0
	v_cvt_f64_f32_e32 v[9:10], v9
	v_cmp_eq_u32_e32 vcc, s8, v12
	v_cndmask_b32_e32 v5, v13, v5, vcc
	v_lshrrev_b32_e32 v6, 16, v6
	v_and_or_b32 v12, v6, s9, v5
	v_mul_f64 v[5:6], v[9:10], s[2:3]
	v_add_co_u32_e32 v3, vcc, s4, v3
	v_and_b32_e32 v9, 0xffff, v11
	v_addc_co_u32_e32 v4, vcc, v4, v2, vcc
	v_lshl_or_b32 v9, v12, 16, v9
	global_store_dword v[3:4], v9, off
	v_and_or_b32 v5, v6, s7, v5
	v_cmp_ne_u32_e32 vcc, 0, v5
	v_cndmask_b32_e64 v5, 0, 1, vcc
	v_lshrrev_b32_e32 v9, 8, v6
	v_bfe_u32 v10, v6, 20, 11
	v_and_or_b32 v5, v9, s6, v5
	v_sub_u32_e32 v11, 0x3f1, v10
	v_or_b32_e32 v9, 0x1000, v5
	v_med3_i32 v11, v11, 0, 13
	v_lshrrev_b32_e32 v12, v11, v9
	v_lshlrev_b32_e32 v11, v11, v12
	v_mul_f16_sdwa v7, v29, v7 dst_sel:DWORD dst_unused:UNUSED_PAD src0_sel:WORD_1 src1_sel:DWORD
	v_cmp_ne_u32_e32 vcc, v11, v9
	v_fma_f16 v7, v29, v14, -v7
	v_cndmask_b32_e64 v9, 0, 1, vcc
	v_add_u32_e32 v11, 0xfffffc10, v10
	v_cvt_f32_f16_e32 v7, v7
	v_or_b32_e32 v9, v12, v9
	v_lshl_or_b32 v10, v11, 12, v5
	v_cmp_gt_i32_e32 vcc, 1, v11
	v_cndmask_b32_e32 v9, v10, v9, vcc
	v_and_b32_e32 v10, 7, v9
	v_cmp_lt_i32_e32 vcc, 5, v10
	v_cmp_eq_u32_e64 s[0:1], 3, v10
	v_lshrrev_b32_e32 v12, 2, v9
	v_cvt_f64_f32_e32 v[9:10], v7
	s_or_b64 vcc, s[0:1], vcc
	v_addc_co_u32_e32 v7, vcc, 0, v12, vcc
	v_mul_f64 v[9:10], v[9:10], s[2:3]
	v_cmp_gt_i32_e32 vcc, 31, v11
	v_cndmask_b32_e32 v7, v0, v7, vcc
	v_cmp_ne_u32_e32 vcc, 0, v5
	v_cndmask_b32_e64 v5, 0, 1, vcc
	v_lshl_or_b32 v5, v5, 9, v0
	v_cmp_eq_u32_e32 vcc, s8, v11
	v_cndmask_b32_e32 v5, v7, v5, vcc
	v_lshrrev_b32_e32 v6, 16, v6
	v_and_or_b32 v7, v6, s9, v5
	v_and_or_b32 v5, v10, s7, v9
	v_cmp_ne_u32_e32 vcc, 0, v5
	v_cndmask_b32_e64 v5, 0, 1, vcc
	v_lshrrev_b32_e32 v6, 8, v10
	v_bfe_u32 v9, v10, 20, 11
	v_and_or_b32 v5, v6, s6, v5
	v_sub_u32_e32 v11, 0x3f1, v9
	v_or_b32_e32 v6, 0x1000, v5
	v_med3_i32 v11, v11, 0, 13
	v_lshrrev_b32_e32 v12, v11, v6
	v_lshlrev_b32_e32 v11, v11, v12
	v_cmp_ne_u32_e32 vcc, v11, v6
	v_cndmask_b32_e64 v6, 0, 1, vcc
	v_add_u32_e32 v9, 0xfffffc10, v9
	v_or_b32_e32 v6, v12, v6
	v_lshl_or_b32 v11, v9, 12, v5
	v_cmp_gt_i32_e32 vcc, 1, v9
	v_cndmask_b32_e32 v6, v11, v6, vcc
	v_and_b32_e32 v11, 7, v6
	v_cmp_lt_i32_e32 vcc, 5, v11
	v_cmp_eq_u32_e64 s[0:1], 3, v11
	v_lshrrev_b32_e32 v6, 2, v6
	s_or_b64 vcc, s[0:1], vcc
	v_addc_co_u32_e32 v6, vcc, 0, v6, vcc
	v_cmp_gt_i32_e32 vcc, 31, v9
	v_lshrrev_b32_e32 v12, 16, v8
	v_cndmask_b32_e32 v11, v0, v6, vcc
	v_mul_f16_sdwa v6, v28, v12 dst_sel:DWORD dst_unused:UNUSED_PAD src0_sel:WORD_1 src1_sel:DWORD
	v_fma_f16 v6, v28, v8, v6
	v_cvt_f32_f16_e32 v6, v6
	v_cmp_ne_u32_e32 vcc, 0, v5
	v_cndmask_b32_e64 v5, 0, 1, vcc
	v_lshl_or_b32 v13, v5, 9, v0
	v_cvt_f64_f32_e32 v[5:6], v6
	v_cmp_eq_u32_e32 vcc, s8, v9
	v_cndmask_b32_e32 v9, v11, v13, vcc
	v_lshrrev_b32_e32 v10, 16, v10
	v_mul_f64 v[5:6], v[5:6], s[2:3]
	v_add_co_u32_e32 v3, vcc, s4, v3
	v_and_or_b32 v9, v10, s9, v9
	v_and_b32_e32 v7, 0xffff, v7
	v_addc_co_u32_e32 v4, vcc, v4, v2, vcc
	v_lshl_or_b32 v7, v9, 16, v7
	v_and_or_b32 v5, v6, s7, v5
	v_cmp_ne_u32_e32 vcc, 0, v5
	global_store_dword v[3:4], v7, off
	v_cndmask_b32_e64 v5, 0, 1, vcc
	v_lshrrev_b32_e32 v7, 8, v6
	v_bfe_u32 v9, v6, 20, 11
	v_and_or_b32 v5, v7, s6, v5
	v_sub_u32_e32 v10, 0x3f1, v9
	v_or_b32_e32 v7, 0x1000, v5
	v_med3_i32 v10, v10, 0, 13
	v_lshrrev_b32_e32 v11, v10, v7
	v_lshlrev_b32_e32 v10, v10, v11
	v_mul_f16_sdwa v8, v28, v8 dst_sel:DWORD dst_unused:UNUSED_PAD src0_sel:WORD_1 src1_sel:DWORD
	v_cmp_ne_u32_e32 vcc, v10, v7
	v_fma_f16 v8, v28, v12, -v8
	v_cndmask_b32_e64 v7, 0, 1, vcc
	v_add_u32_e32 v9, 0xfffffc10, v9
	v_cvt_f32_f16_e32 v8, v8
	v_or_b32_e32 v7, v11, v7
	v_lshl_or_b32 v10, v9, 12, v5
	v_cmp_gt_i32_e32 vcc, 1, v9
	v_cndmask_b32_e32 v7, v10, v7, vcc
	v_and_b32_e32 v10, 7, v7
	v_cmp_lt_i32_e32 vcc, 5, v10
	v_cmp_eq_u32_e64 s[0:1], 3, v10
	v_lshrrev_b32_e32 v10, 2, v7
	v_cvt_f64_f32_e32 v[7:8], v8
	s_or_b64 vcc, s[0:1], vcc
	v_addc_co_u32_e32 v10, vcc, 0, v10, vcc
	v_mul_f64 v[7:8], v[7:8], s[2:3]
	v_cmp_gt_i32_e32 vcc, 31, v9
	v_cndmask_b32_e32 v10, v0, v10, vcc
	v_cmp_ne_u32_e32 vcc, 0, v5
	v_cndmask_b32_e64 v5, 0, 1, vcc
	v_lshl_or_b32 v5, v5, 9, v0
	v_cmp_eq_u32_e32 vcc, s8, v9
	v_cndmask_b32_e32 v5, v10, v5, vcc
	v_lshrrev_b32_e32 v6, 16, v6
	v_and_or_b32 v9, v6, s9, v5
	v_and_or_b32 v5, v8, s7, v7
	v_cmp_ne_u32_e32 vcc, 0, v5
	v_cndmask_b32_e64 v5, 0, 1, vcc
	v_lshrrev_b32_e32 v6, 8, v8
	v_bfe_u32 v7, v8, 20, 11
	v_and_or_b32 v5, v6, s6, v5
	v_sub_u32_e32 v10, 0x3f1, v7
	v_or_b32_e32 v6, 0x1000, v5
	v_med3_i32 v10, v10, 0, 13
	v_lshrrev_b32_e32 v11, v10, v6
	v_lshlrev_b32_e32 v10, v10, v11
	v_cmp_ne_u32_e32 vcc, v10, v6
	v_cndmask_b32_e64 v6, 0, 1, vcc
	v_add_u32_e32 v7, 0xfffffc10, v7
	v_or_b32_e32 v6, v11, v6
	v_lshl_or_b32 v10, v7, 12, v5
	v_cmp_gt_i32_e32 vcc, 1, v7
	v_cndmask_b32_e32 v6, v10, v6, vcc
	v_and_b32_e32 v10, 7, v6
	v_cmp_lt_i32_e32 vcc, 5, v10
	v_cmp_eq_u32_e64 s[0:1], 3, v10
	v_lshrrev_b32_e32 v6, 2, v6
	s_or_b64 vcc, s[0:1], vcc
	v_addc_co_u32_e32 v6, vcc, 0, v6, vcc
	v_cmp_gt_i32_e32 vcc, 31, v7
	v_lshrrev_b32_e32 v11, 16, v1
	v_cndmask_b32_e32 v10, v0, v6, vcc
	v_mul_f16_sdwa v6, v27, v11 dst_sel:DWORD dst_unused:UNUSED_PAD src0_sel:WORD_1 src1_sel:DWORD
	v_fma_f16 v6, v27, v1, v6
	v_cvt_f32_f16_e32 v6, v6
	v_cmp_ne_u32_e32 vcc, 0, v5
	v_cndmask_b32_e64 v5, 0, 1, vcc
	v_lshl_or_b32 v12, v5, 9, v0
	v_cvt_f64_f32_e32 v[5:6], v6
	v_cmp_eq_u32_e32 vcc, s8, v7
	v_cndmask_b32_e32 v7, v10, v12, vcc
	v_lshrrev_b32_e32 v8, 16, v8
	v_mul_f64 v[5:6], v[5:6], s[2:3]
	v_add_co_u32_e32 v3, vcc, s4, v3
	v_and_or_b32 v7, v8, s9, v7
	v_and_b32_e32 v8, 0xffff, v9
	v_addc_co_u32_e32 v4, vcc, v4, v2, vcc
	v_lshl_or_b32 v7, v7, 16, v8
	v_and_or_b32 v5, v6, s7, v5
	v_cmp_ne_u32_e32 vcc, 0, v5
	global_store_dword v[3:4], v7, off
	v_cndmask_b32_e64 v5, 0, 1, vcc
	v_lshrrev_b32_e32 v7, 8, v6
	v_bfe_u32 v8, v6, 20, 11
	v_and_or_b32 v5, v7, s6, v5
	v_sub_u32_e32 v9, 0x3f1, v8
	v_or_b32_e32 v7, 0x1000, v5
	v_med3_i32 v9, v9, 0, 13
	v_lshrrev_b32_e32 v10, v9, v7
	v_lshlrev_b32_e32 v9, v9, v10
	v_mul_f16_sdwa v1, v27, v1 dst_sel:DWORD dst_unused:UNUSED_PAD src0_sel:WORD_1 src1_sel:DWORD
	v_cmp_ne_u32_e32 vcc, v9, v7
	v_fma_f16 v1, v27, v11, -v1
	v_cndmask_b32_e64 v7, 0, 1, vcc
	v_add_u32_e32 v9, 0xfffffc10, v8
	v_cvt_f32_f16_e32 v1, v1
	v_or_b32_e32 v7, v10, v7
	v_lshl_or_b32 v8, v9, 12, v5
	v_cmp_gt_i32_e32 vcc, 1, v9
	v_cndmask_b32_e32 v7, v8, v7, vcc
	v_and_b32_e32 v8, 7, v7
	v_cmp_lt_i32_e32 vcc, 5, v8
	v_cmp_eq_u32_e64 s[0:1], 3, v8
	v_lshrrev_b32_e32 v10, 2, v7
	v_cvt_f64_f32_e32 v[7:8], v1
	s_or_b64 vcc, s[0:1], vcc
	v_addc_co_u32_e32 v1, vcc, 0, v10, vcc
	v_mul_f64 v[7:8], v[7:8], s[2:3]
	v_cmp_gt_i32_e32 vcc, 31, v9
	v_cndmask_b32_e32 v1, v0, v1, vcc
	v_cmp_ne_u32_e32 vcc, 0, v5
	v_cndmask_b32_e64 v5, 0, 1, vcc
	v_lshl_or_b32 v5, v5, 9, v0
	v_cmp_eq_u32_e32 vcc, s8, v9
	v_cndmask_b32_e32 v1, v1, v5, vcc
	v_lshrrev_b32_e32 v5, 16, v6
	v_and_or_b32 v1, v5, s9, v1
	v_and_or_b32 v5, v8, s7, v7
	v_cmp_ne_u32_e32 vcc, 0, v5
	v_cndmask_b32_e64 v5, 0, 1, vcc
	v_lshrrev_b32_e32 v6, 8, v8
	v_bfe_u32 v7, v8, 20, 11
	v_and_or_b32 v5, v6, s6, v5
	v_sub_u32_e32 v9, 0x3f1, v7
	v_or_b32_e32 v6, 0x1000, v5
	v_med3_i32 v9, v9, 0, 13
	v_lshrrev_b32_e32 v10, v9, v6
	v_lshlrev_b32_e32 v9, v9, v10
	v_cmp_ne_u32_e32 vcc, v9, v6
	v_cndmask_b32_e64 v6, 0, 1, vcc
	v_add_u32_e32 v7, 0xfffffc10, v7
	v_or_b32_e32 v6, v10, v6
	v_lshl_or_b32 v9, v7, 12, v5
	v_cmp_gt_i32_e32 vcc, 1, v7
	v_cndmask_b32_e32 v6, v9, v6, vcc
	v_and_b32_e32 v9, 7, v6
	v_cmp_lt_i32_e32 vcc, 5, v9
	v_cmp_eq_u32_e64 s[0:1], 3, v9
	v_lshrrev_b32_e32 v6, 2, v6
	s_or_b64 vcc, s[0:1], vcc
	v_addc_co_u32_e32 v6, vcc, 0, v6, vcc
	v_cmp_gt_i32_e32 vcc, 31, v7
	v_cndmask_b32_e32 v6, v0, v6, vcc
	v_cmp_ne_u32_e32 vcc, 0, v5
	v_cndmask_b32_e64 v5, 0, 1, vcc
	v_lshl_or_b32 v0, v5, 9, v0
	v_cmp_eq_u32_e32 vcc, s8, v7
	v_cndmask_b32_e32 v0, v6, v0, vcc
	v_lshrrev_b32_e32 v5, 16, v8
	v_and_or_b32 v0, v5, s9, v0
	v_and_b32_e32 v1, 0xffff, v1
	v_lshl_or_b32 v5, v0, 16, v1
	v_add_co_u32_e32 v0, vcc, s4, v3
	v_addc_co_u32_e32 v1, vcc, v4, v2, vcc
	global_store_dword v[0:1], v5, off
.LBB0_10:
	s_endpgm
	.section	.rodata,"a",@progbits
	.p2align	6, 0x0
	.amdhsa_kernel bluestein_single_back_len104_dim1_half_op_CI_CI
		.amdhsa_group_segment_fixed_size 3328
		.amdhsa_private_segment_fixed_size 0
		.amdhsa_kernarg_size 104
		.amdhsa_user_sgpr_count 6
		.amdhsa_user_sgpr_private_segment_buffer 1
		.amdhsa_user_sgpr_dispatch_ptr 0
		.amdhsa_user_sgpr_queue_ptr 0
		.amdhsa_user_sgpr_kernarg_segment_ptr 1
		.amdhsa_user_sgpr_dispatch_id 0
		.amdhsa_user_sgpr_flat_scratch_init 0
		.amdhsa_user_sgpr_private_segment_size 0
		.amdhsa_uses_dynamic_stack 0
		.amdhsa_system_sgpr_private_segment_wavefront_offset 0
		.amdhsa_system_sgpr_workgroup_id_x 1
		.amdhsa_system_sgpr_workgroup_id_y 0
		.amdhsa_system_sgpr_workgroup_id_z 0
		.amdhsa_system_sgpr_workgroup_info 0
		.amdhsa_system_vgpr_workitem_id 0
		.amdhsa_next_free_vgpr 86
		.amdhsa_next_free_sgpr 25
		.amdhsa_reserve_vcc 1
		.amdhsa_reserve_flat_scratch 0
		.amdhsa_float_round_mode_32 0
		.amdhsa_float_round_mode_16_64 0
		.amdhsa_float_denorm_mode_32 3
		.amdhsa_float_denorm_mode_16_64 3
		.amdhsa_dx10_clamp 1
		.amdhsa_ieee_mode 1
		.amdhsa_fp16_overflow 0
		.amdhsa_exception_fp_ieee_invalid_op 0
		.amdhsa_exception_fp_denorm_src 0
		.amdhsa_exception_fp_ieee_div_zero 0
		.amdhsa_exception_fp_ieee_overflow 0
		.amdhsa_exception_fp_ieee_underflow 0
		.amdhsa_exception_fp_ieee_inexact 0
		.amdhsa_exception_int_div_zero 0
	.end_amdhsa_kernel
	.text
.Lfunc_end0:
	.size	bluestein_single_back_len104_dim1_half_op_CI_CI, .Lfunc_end0-bluestein_single_back_len104_dim1_half_op_CI_CI
                                        ; -- End function
	.section	.AMDGPU.csdata,"",@progbits
; Kernel info:
; codeLenInByte = 17344
; NumSgprs: 29
; NumVgprs: 86
; ScratchSize: 0
; MemoryBound: 0
; FloatMode: 240
; IeeeMode: 1
; LDSByteSize: 3328 bytes/workgroup (compile time only)
; SGPRBlocks: 3
; VGPRBlocks: 21
; NumSGPRsForWavesPerEU: 29
; NumVGPRsForWavesPerEU: 86
; Occupancy: 2
; WaveLimiterHint : 1
; COMPUTE_PGM_RSRC2:SCRATCH_EN: 0
; COMPUTE_PGM_RSRC2:USER_SGPR: 6
; COMPUTE_PGM_RSRC2:TRAP_HANDLER: 0
; COMPUTE_PGM_RSRC2:TGID_X_EN: 1
; COMPUTE_PGM_RSRC2:TGID_Y_EN: 0
; COMPUTE_PGM_RSRC2:TGID_Z_EN: 0
; COMPUTE_PGM_RSRC2:TIDIG_COMP_CNT: 0
	.type	__hip_cuid_4bbb083cbc1c72dc,@object ; @__hip_cuid_4bbb083cbc1c72dc
	.section	.bss,"aw",@nobits
	.globl	__hip_cuid_4bbb083cbc1c72dc
__hip_cuid_4bbb083cbc1c72dc:
	.byte	0                               ; 0x0
	.size	__hip_cuid_4bbb083cbc1c72dc, 1

	.ident	"AMD clang version 19.0.0git (https://github.com/RadeonOpenCompute/llvm-project roc-6.4.0 25133 c7fe45cf4b819c5991fe208aaa96edf142730f1d)"
	.section	".note.GNU-stack","",@progbits
	.addrsig
	.addrsig_sym __hip_cuid_4bbb083cbc1c72dc
	.amdgpu_metadata
---
amdhsa.kernels:
  - .args:
      - .actual_access:  read_only
        .address_space:  global
        .offset:         0
        .size:           8
        .value_kind:     global_buffer
      - .actual_access:  read_only
        .address_space:  global
        .offset:         8
        .size:           8
        .value_kind:     global_buffer
      - .actual_access:  read_only
        .address_space:  global
        .offset:         16
        .size:           8
        .value_kind:     global_buffer
      - .actual_access:  read_only
        .address_space:  global
        .offset:         24
        .size:           8
        .value_kind:     global_buffer
      - .actual_access:  read_only
        .address_space:  global
        .offset:         32
        .size:           8
        .value_kind:     global_buffer
      - .offset:         40
        .size:           8
        .value_kind:     by_value
      - .address_space:  global
        .offset:         48
        .size:           8
        .value_kind:     global_buffer
      - .address_space:  global
        .offset:         56
        .size:           8
        .value_kind:     global_buffer
      - .address_space:  global
        .offset:         64
        .size:           8
        .value_kind:     global_buffer
      - .address_space:  global
        .offset:         72
        .size:           8
        .value_kind:     global_buffer
      - .offset:         80
        .size:           4
        .value_kind:     by_value
      - .address_space:  global
        .offset:         88
        .size:           8
        .value_kind:     global_buffer
      - .address_space:  global
        .offset:         96
        .size:           8
        .value_kind:     global_buffer
    .group_segment_fixed_size: 3328
    .kernarg_segment_align: 8
    .kernarg_segment_size: 104
    .language:       OpenCL C
    .language_version:
      - 2
      - 0
    .max_flat_workgroup_size: 64
    .name:           bluestein_single_back_len104_dim1_half_op_CI_CI
    .private_segment_fixed_size: 0
    .sgpr_count:     29
    .sgpr_spill_count: 0
    .symbol:         bluestein_single_back_len104_dim1_half_op_CI_CI.kd
    .uniform_work_group_size: 1
    .uses_dynamic_stack: false
    .vgpr_count:     86
    .vgpr_spill_count: 0
    .wavefront_size: 64
amdhsa.target:   amdgcn-amd-amdhsa--gfx906
amdhsa.version:
  - 1
  - 2
...

	.end_amdgpu_metadata
